;; amdgpu-corpus repo=ROCm/rocFFT kind=compiled arch=gfx906 opt=O3
	.text
	.amdgcn_target "amdgcn-amd-amdhsa--gfx906"
	.amdhsa_code_object_version 6
	.protected	bluestein_single_back_len351_dim1_dp_op_CI_CI ; -- Begin function bluestein_single_back_len351_dim1_dp_op_CI_CI
	.globl	bluestein_single_back_len351_dim1_dp_op_CI_CI
	.p2align	8
	.type	bluestein_single_back_len351_dim1_dp_op_CI_CI,@function
bluestein_single_back_len351_dim1_dp_op_CI_CI: ; @bluestein_single_back_len351_dim1_dp_op_CI_CI
; %bb.0:
	v_mul_u32_u24_e32 v1, 0x691, v0
	s_load_dwordx4 s[0:3], s[4:5], 0x28
	v_lshrrev_b32_e32 v1, 16, v1
	v_mad_u64_u32 v[120:121], s[6:7], s6, 3, v[1:2]
	v_mov_b32_e32 v121, 0
	s_waitcnt lgkmcnt(0)
	v_cmp_gt_u64_e32 vcc, s[0:1], v[120:121]
	s_and_saveexec_b64 s[0:1], vcc
	s_cbranch_execz .LBB0_15
; %bb.1:
	s_mov_b32 s0, 0xaaaaaaab
	v_mul_hi_u32 v2, v120, s0
	v_mul_lo_u16_e32 v1, 39, v1
	s_load_dwordx2 s[14:15], s[4:5], 0x0
	s_load_dwordx2 s[12:13], s[4:5], 0x38
	v_sub_u16_e32 v213, v0, v1
	v_lshrrev_b32_e32 v0, 1, v2
	v_lshl_add_u32 v0, v0, 1, v0
	v_sub_u32_e32 v0, v120, v0
	v_mul_u32_u24_e32 v217, 0x15f, v0
	v_cmp_gt_u16_e64 s[0:1], 27, v213
	v_lshlrev_b32_e32 v214, 4, v213
	v_lshlrev_b32_e32 v215, 4, v217
	s_and_saveexec_b64 s[6:7], s[0:1]
	s_cbranch_execz .LBB0_3
; %bb.2:
	s_load_dwordx2 s[8:9], s[4:5], 0x18
	s_waitcnt lgkmcnt(0)
	s_load_dwordx4 s[8:11], s[8:9], 0x0
	s_waitcnt lgkmcnt(0)
	v_mad_u64_u32 v[0:1], s[16:17], s10, v120, 0
	v_mad_u64_u32 v[2:3], s[16:17], s8, v213, 0
	;; [unrolled: 1-line block ×4, first 2 shown]
	v_mov_b32_e32 v1, v4
	v_lshlrev_b64 v[0:1], 4, v[0:1]
	v_mov_b32_e32 v3, v5
	v_mov_b32_e32 v6, s3
	v_lshlrev_b64 v[2:3], 4, v[2:3]
	v_add_co_u32_e32 v0, vcc, s2, v0
	v_addc_co_u32_e32 v1, vcc, v6, v1, vcc
	v_add_co_u32_e32 v16, vcc, v0, v2
	v_addc_co_u32_e32 v17, vcc, v1, v3, vcc
	v_mov_b32_e32 v0, s15
	v_add_co_u32_e32 v86, vcc, s14, v214
	s_mul_i32 s2, s9, 0x1b0
	s_mul_hi_u32 s3, s8, 0x1b0
	v_addc_co_u32_e32 v87, vcc, 0, v0, vcc
	s_add_i32 s2, s3, s2
	s_mul_i32 s3, s8, 0x1b0
	v_mov_b32_e32 v0, s2
	v_add_co_u32_e32 v18, vcc, s3, v16
	v_addc_co_u32_e32 v19, vcc, v17, v0, vcc
	global_load_dwordx4 v[0:3], v[16:17], off
	global_load_dwordx4 v[4:7], v[18:19], off
	global_load_dwordx4 v[8:11], v214, s[14:15]
	global_load_dwordx4 v[12:15], v214, s[14:15] offset:432
	v_mov_b32_e32 v16, s2
	v_add_co_u32_e32 v32, vcc, s3, v18
	v_addc_co_u32_e32 v33, vcc, v19, v16, vcc
	v_add_co_u32_e32 v34, vcc, s3, v32
	v_addc_co_u32_e32 v35, vcc, v33, v16, vcc
	global_load_dwordx4 v[16:19], v[32:33], off
	global_load_dwordx4 v[20:23], v[34:35], off
	global_load_dwordx4 v[24:27], v214, s[14:15] offset:864
	global_load_dwordx4 v[28:31], v214, s[14:15] offset:1296
	v_mov_b32_e32 v32, s2
	v_add_co_u32_e32 v36, vcc, s3, v34
	v_addc_co_u32_e32 v37, vcc, v35, v32, vcc
	v_mov_b32_e32 v38, s2
	v_add_co_u32_e32 v48, vcc, s3, v36
	global_load_dwordx4 v[32:35], v[36:37], off
	v_addc_co_u32_e32 v49, vcc, v37, v38, vcc
	global_load_dwordx4 v[36:39], v[48:49], off
	global_load_dwordx4 v[40:43], v214, s[14:15] offset:1728
	global_load_dwordx4 v[44:47], v214, s[14:15] offset:2160
	v_mov_b32_e32 v50, s2
	v_add_co_u32_e32 v52, vcc, s3, v48
	v_addc_co_u32_e32 v53, vcc, v49, v50, vcc
	v_mov_b32_e32 v54, s2
	v_add_co_u32_e32 v64, vcc, s3, v52
	v_addc_co_u32_e32 v65, vcc, v53, v54, vcc
	;; [unrolled: 3-line block ×5, first 2 shown]
	s_movk_i32 s8, 0x1000
	global_load_dwordx4 v[48:51], v[52:53], off
	v_add_co_u32_e32 v104, vcc, s8, v86
	global_load_dwordx4 v[52:55], v[64:65], off
	global_load_dwordx4 v[56:59], v214, s[14:15] offset:2592
	global_load_dwordx4 v[60:63], v214, s[14:15] offset:3024
	v_addc_co_u32_e32 v105, vcc, 0, v87, vcc
	global_load_dwordx4 v[64:67], v[68:69], off
	v_mov_b32_e32 v86, s2
	v_add_co_u32_e32 v96, vcc, s3, v84
	global_load_dwordx4 v[68:71], v[80:81], off
	global_load_dwordx4 v[72:75], v214, s[14:15] offset:3456
	global_load_dwordx4 v[76:79], v214, s[14:15] offset:3888
	v_addc_co_u32_e32 v97, vcc, v85, v86, vcc
	global_load_dwordx4 v[80:83], v[84:85], off
	v_mov_b32_e32 v98, s2
	v_add_co_u32_e32 v106, vcc, s3, v96
	global_load_dwordx4 v[84:87], v[96:97], off
	global_load_dwordx4 v[88:91], v[104:105], off offset:224
	global_load_dwordx4 v[92:95], v[104:105], off offset:656
	v_addc_co_u32_e32 v107, vcc, v97, v98, vcc
	global_load_dwordx4 v[96:99], v[106:107], off
	global_load_dwordx4 v[100:103], v[104:105], off offset:1088
	s_waitcnt vmcnt(23)
	v_mul_f64 v[104:105], v[2:3], v[10:11]
	v_mul_f64 v[10:11], v[0:1], v[10:11]
	v_fma_f64 v[0:1], v[0:1], v[8:9], v[104:105]
	v_fma_f64 v[2:3], v[2:3], v[8:9], -v[10:11]
	s_waitcnt vmcnt(22)
	v_mul_f64 v[8:9], v[6:7], v[14:15]
	v_mul_f64 v[10:11], v[4:5], v[14:15]
	s_waitcnt vmcnt(19)
	v_mul_f64 v[14:15], v[18:19], v[26:27]
	v_mul_f64 v[26:27], v[16:17], v[26:27]
	;; [unrolled: 3-line block ×3, first 2 shown]
	v_fma_f64 v[4:5], v[4:5], v[12:13], v[8:9]
	v_fma_f64 v[6:7], v[6:7], v[12:13], -v[10:11]
	v_fma_f64 v[8:9], v[16:17], v[24:25], v[14:15]
	v_fma_f64 v[10:11], v[18:19], v[24:25], -v[26:27]
	s_waitcnt vmcnt(15)
	v_mul_f64 v[106:107], v[34:35], v[42:43]
	v_mul_f64 v[42:43], v[32:33], v[42:43]
	v_fma_f64 v[12:13], v[20:21], v[28:29], v[104:105]
	v_fma_f64 v[14:15], v[22:23], v[28:29], -v[30:31]
	v_lshl_add_u32 v20, v213, 4, v215
	ds_write_b128 v20, v[0:3]
	s_waitcnt vmcnt(14)
	v_mul_f64 v[0:1], v[38:39], v[46:47]
	v_mul_f64 v[2:3], v[36:37], v[46:47]
	v_fma_f64 v[16:17], v[32:33], v[40:41], v[106:107]
	v_fma_f64 v[18:19], v[34:35], v[40:41], -v[42:43]
	v_add_u32_e32 v32, v215, v214
	ds_write_b128 v32, v[4:7] offset:432
	ds_write_b128 v32, v[8:11] offset:864
	;; [unrolled: 1-line block ×4, first 2 shown]
	v_fma_f64 v[0:1], v[36:37], v[44:45], v[0:1]
	v_fma_f64 v[2:3], v[38:39], v[44:45], -v[2:3]
	s_waitcnt vmcnt(11)
	v_mul_f64 v[4:5], v[50:51], v[58:59]
	v_mul_f64 v[6:7], v[48:49], v[58:59]
	s_waitcnt vmcnt(10)
	v_mul_f64 v[8:9], v[54:55], v[62:63]
	v_mul_f64 v[10:11], v[52:53], v[62:63]
	;; [unrolled: 3-line block ×4, first 2 shown]
	v_fma_f64 v[4:5], v[48:49], v[56:57], v[4:5]
	v_fma_f64 v[6:7], v[50:51], v[56:57], -v[6:7]
	v_fma_f64 v[8:9], v[52:53], v[60:61], v[8:9]
	s_waitcnt vmcnt(3)
	v_mul_f64 v[20:21], v[82:83], v[90:91]
	v_mul_f64 v[22:23], v[80:81], v[90:91]
	s_waitcnt vmcnt(2)
	v_mul_f64 v[24:25], v[86:87], v[94:95]
	v_mul_f64 v[26:27], v[84:85], v[94:95]
	;; [unrolled: 3-line block ×3, first 2 shown]
	v_fma_f64 v[10:11], v[54:55], v[60:61], -v[10:11]
	v_fma_f64 v[12:13], v[64:65], v[72:73], v[12:13]
	v_fma_f64 v[14:15], v[66:67], v[72:73], -v[14:15]
	v_fma_f64 v[16:17], v[68:69], v[76:77], v[16:17]
	;; [unrolled: 2-line block ×5, first 2 shown]
	v_fma_f64 v[30:31], v[98:99], v[100:101], -v[30:31]
	ds_write_b128 v32, v[0:3] offset:2160
	ds_write_b128 v32, v[4:7] offset:2592
	;; [unrolled: 1-line block ×8, first 2 shown]
.LBB0_3:
	s_or_b64 exec, exec, s[6:7]
	s_load_dwordx2 s[6:7], s[4:5], 0x20
	s_load_dwordx2 s[2:3], s[4:5], 0x8
	s_waitcnt lgkmcnt(0)
	s_barrier
	s_waitcnt lgkmcnt(0)
                                        ; implicit-def: $vgpr16_vgpr17
                                        ; implicit-def: $vgpr20_vgpr21
                                        ; implicit-def: $vgpr24_vgpr25
                                        ; implicit-def: $vgpr28_vgpr29
                                        ; implicit-def: $vgpr32_vgpr33
                                        ; implicit-def: $vgpr36_vgpr37
                                        ; implicit-def: $vgpr40_vgpr41
                                        ; implicit-def: $vgpr44_vgpr45
                                        ; implicit-def: $vgpr48_vgpr49
                                        ; implicit-def: $vgpr52_vgpr53
                                        ; implicit-def: $vgpr56_vgpr57
                                        ; implicit-def: $vgpr60_vgpr61
                                        ; implicit-def: $vgpr64_vgpr65
	s_and_saveexec_b64 s[4:5], s[0:1]
	s_cbranch_execz .LBB0_5
; %bb.4:
	v_lshl_add_u32 v0, v217, 4, v214
	ds_read_b128 v[16:19], v0
	ds_read_b128 v[20:23], v0 offset:432
	ds_read_b128 v[24:27], v0 offset:864
	;; [unrolled: 1-line block ×12, first 2 shown]
.LBB0_5:
	s_or_b64 exec, exec, s[4:5]
	s_waitcnt lgkmcnt(0)
	v_add_f64 v[114:115], v[20:21], -v[64:65]
	s_mov_b32 s22, 0x4267c47c
	s_mov_b32 s23, 0xbfddbe06
	v_add_f64 v[100:101], v[22:23], v[66:67]
	v_add_f64 v[139:140], v[24:25], -v[60:61]
	s_mov_b32 s4, 0xe00740e9
	s_mov_b32 s20, 0x42a4c3d2
	;; [unrolled: 1-line block ×3, first 2 shown]
	v_mul_f64 v[70:71], v[114:115], s[22:23]
	s_mov_b32 s21, 0xbfea55e2
	v_add_f64 v[110:111], v[26:27], v[62:63]
	v_add_f64 v[143:144], v[28:29], -v[56:57]
	v_mul_f64 v[74:75], v[139:140], s[20:21]
	s_mov_b32 s8, 0x1ea71119
	s_mov_b32 s30, 0x66966769
	s_mov_b32 s9, 0x3fe22d96
	v_fma_f64 v[2:3], v[100:101], s[4:5], -v[70:71]
	s_mov_b32 s31, 0xbfefc445
	v_add_f64 v[125:126], v[30:31], v[58:59]
	v_mul_f64 v[78:79], v[143:144], s[30:31]
	v_fma_f64 v[6:7], v[110:111], s[8:9], -v[74:75]
	v_add_f64 v[153:154], v[32:33], -v[52:53]
	s_mov_b32 s10, 0xebaa3ed8
	s_mov_b32 s18, 0x2ef20147
	v_add_f64 v[2:3], v[18:19], v[2:3]
	s_mov_b32 s11, 0x3fbedb7d
	s_mov_b32 s19, 0xbfedeba7
	v_add_f64 v[149:150], v[22:23], -v[66:67]
	v_add_f64 v[129:130], v[34:35], v[54:55]
	v_mul_f64 v[82:83], v[153:154], s[18:19]
	s_mov_b32 s16, 0xb2365da1
	s_mov_b32 s17, 0xbfd6b1d8
	v_add_f64 v[2:3], v[6:7], v[2:3]
	v_fma_f64 v[6:7], v[125:126], s[10:11], -v[78:79]
	v_add_f64 v[98:99], v[20:21], v[64:65]
	v_add_f64 v[173:174], v[26:27], -v[62:63]
	v_mul_f64 v[88:89], v[149:150], s[20:21]
	v_mul_f64 v[137:138], v[114:115], s[20:21]
	v_add_f64 v[108:109], v[24:25], v[60:61]
	v_add_f64 v[177:178], v[30:31], -v[58:59]
	v_mul_f64 v[112:113], v[139:140], s[18:19]
	v_add_f64 v[2:3], v[6:7], v[2:3]
	v_fma_f64 v[6:7], v[129:130], s[16:17], -v[82:83]
	v_mul_f64 v[94:95], v[173:174], s[18:19]
	s_mov_b32 s42, 0x4bc48dbf
	v_fma_f64 v[8:9], v[100:101], s[8:9], -v[137:138]
	s_mov_b32 s43, 0xbfcea1e5
	v_add_f64 v[123:124], v[28:29], v[56:57]
	v_add_f64 v[183:184], v[34:35], -v[54:55]
	v_fma_f64 v[12:13], v[110:111], s[16:17], -v[112:113]
	v_add_f64 v[2:3], v[6:7], v[2:3]
	v_fma_f64 v[6:7], v[98:99], s[8:9], v[88:89]
	v_fma_f64 v[10:11], v[108:109], s[16:17], v[94:95]
	v_add_f64 v[8:9], v[18:19], v[8:9]
	v_mul_f64 v[96:97], v[177:178], s[42:43]
	v_mul_f64 v[116:117], v[143:144], s[42:43]
	s_mov_b32 s36, 0x24c2f84
	s_mov_b32 s28, 0x93053d00
	;; [unrolled: 1-line block ×3, first 2 shown]
	v_add_f64 v[6:7], v[16:17], v[6:7]
	s_mov_b32 s29, 0xbfef11f4
	v_add_f64 v[127:128], v[32:33], v[52:53]
	v_add_f64 v[185:186], v[38:39], -v[50:51]
	v_add_f64 v[175:176], v[36:37], -v[48:49]
	v_add_f64 v[8:9], v[12:13], v[8:9]
	v_fma_f64 v[12:13], v[125:126], s[28:29], -v[116:117]
	v_mul_f64 v[102:103], v[183:184], s[36:37]
	v_add_f64 v[6:7], v[10:11], v[6:7]
	v_fma_f64 v[10:11], v[123:124], s[28:29], v[96:97]
	v_mul_f64 v[118:119], v[153:154], s[36:37]
	s_mov_b32 s26, 0xd0032e0c
	s_mov_b32 s27, 0xbfe7f3cc
	;; [unrolled: 1-line block ×4, first 2 shown]
	v_mul_f64 v[68:69], v[149:150], s[22:23]
	v_add_f64 v[133:134], v[36:37], v[48:49]
	v_add_f64 v[161:162], v[38:39], v[50:51]
	;; [unrolled: 1-line block ×4, first 2 shown]
	v_fma_f64 v[10:11], v[127:128], s[26:27], v[102:103]
	v_fma_f64 v[12:13], v[129:130], s[26:27], -v[118:119]
	v_mul_f64 v[104:105], v[185:186], s[40:41]
	v_mul_f64 v[121:122], v[175:176], s[40:41]
	;; [unrolled: 1-line block ×4, first 2 shown]
	v_fma_f64 v[0:1], v[98:99], s[4:5], v[68:69]
	v_mul_f64 v[72:73], v[173:174], s[20:21]
	v_add_f64 v[6:7], v[10:11], v[6:7]
	v_add_f64 v[8:9], v[12:13], v[8:9]
	v_fma_f64 v[10:11], v[133:134], s[10:11], v[104:105]
	v_fma_f64 v[12:13], v[161:162], s[10:11], -v[121:122]
	v_fma_f64 v[145:146], v[98:99], s[10:11], v[135:136]
	v_mul_f64 v[141:142], v[173:174], s[42:43]
	v_fma_f64 v[147:148], v[100:101], s[10:11], -v[181:182]
	v_mul_f64 v[179:180], v[139:140], s[42:43]
	v_mul_f64 v[195:196], v[149:150], s[18:19]
	;; [unrolled: 1-line block ×3, first 2 shown]
	s_mov_b32 s45, 0x3fedeba7
	s_mov_b32 s44, s18
	v_add_f64 v[0:1], v[16:17], v[0:1]
	v_fma_f64 v[4:5], v[108:109], s[8:9], v[72:73]
	v_mul_f64 v[76:77], v[177:178], s[30:31]
	v_add_f64 v[6:7], v[10:11], v[6:7]
	v_add_f64 v[10:11], v[12:13], v[8:9]
	;; [unrolled: 1-line block ×3, first 2 shown]
	v_fma_f64 v[155:156], v[108:109], s[28:29], v[141:142]
	v_add_f64 v[147:148], v[18:19], v[147:148]
	v_fma_f64 v[157:158], v[110:111], s[28:29], -v[179:180]
	v_mul_f64 v[151:152], v[143:144], s[44:45]
	v_fma_f64 v[167:168], v[98:99], s[16:17], v[195:196]
	v_mul_f64 v[193:194], v[173:174], s[36:37]
	v_fma_f64 v[169:170], v[100:101], s[16:17], -v[209:210]
	v_mul_f64 v[207:208], v[139:140], s[36:37]
	s_mov_b32 s39, 0x3fddbe06
	s_mov_b32 s38, s22
	v_add_f64 v[0:1], v[4:5], v[0:1]
	v_fma_f64 v[4:5], v[123:124], s[10:11], v[76:77]
	v_mul_f64 v[80:81], v[183:184], s[18:19]
	v_mul_f64 v[145:146], v[177:178], s[44:45]
	v_add_f64 v[12:13], v[155:156], v[12:13]
	v_add_f64 v[157:158], v[157:158], v[147:148]
	v_fma_f64 v[189:190], v[125:126], s[16:17], -v[151:152]
	v_mul_f64 v[155:156], v[153:154], s[38:39]
	v_add_f64 v[167:168], v[16:17], v[167:168]
	v_fma_f64 v[191:192], v[108:109], s[26:27], v[193:194]
	v_add_f64 v[169:170], v[18:19], v[169:170]
	v_fma_f64 v[197:198], v[110:111], s[26:27], -v[207:208]
	v_mul_f64 v[199:200], v[177:178], s[38:39]
	v_mul_f64 v[211:212], v[143:144], s[38:39]
	s_mov_b32 s35, 0xbfe5384d
	s_mov_b32 s34, s36
	v_add_f64 v[0:1], v[4:5], v[0:1]
	v_fma_f64 v[4:5], v[127:128], s[16:17], v[80:81]
	v_mul_f64 v[84:85], v[185:186], s[34:35]
	v_fma_f64 v[171:172], v[123:124], s[16:17], v[145:146]
	v_mul_f64 v[147:148], v[183:184], s[38:39]
	v_add_f64 v[157:158], v[189:190], v[157:158]
	v_fma_f64 v[189:190], v[129:130], s[4:5], -v[155:156]
	v_add_f64 v[167:168], v[191:192], v[167:168]
	v_add_f64 v[191:192], v[197:198], v[169:170]
	v_fma_f64 v[201:202], v[123:124], s[4:5], v[199:200]
	v_fma_f64 v[205:206], v[125:126], s[4:5], -v[211:212]
	v_mul_f64 v[197:198], v[183:184], s[30:31]
	v_mul_f64 v[203:204], v[153:154], s[30:31]
	s_mov_b32 s47, 0x3fcea1e5
	s_mov_b32 s46, s42
	v_add_f64 v[0:1], v[4:5], v[0:1]
	v_fma_f64 v[4:5], v[133:134], s[26:27], v[84:85]
	v_mul_f64 v[86:87], v[175:176], s[34:35]
	v_add_f64 v[165:166], v[42:43], -v[46:47]
	v_add_f64 v[187:188], v[40:41], -v[44:45]
	v_add_f64 v[12:13], v[171:172], v[12:13]
	v_fma_f64 v[171:172], v[127:128], s[4:5], v[147:148]
	v_add_f64 v[220:221], v[189:190], v[157:158]
	v_mul_f64 v[157:158], v[185:186], s[20:21]
	v_mul_f64 v[169:170], v[175:176], s[20:21]
	v_add_f64 v[222:223], v[201:202], v[167:168]
	v_add_f64 v[191:192], v[205:206], v[191:192]
	v_fma_f64 v[205:206], v[127:128], s[10:11], v[197:198]
	v_fma_f64 v[224:225], v[129:130], s[10:11], -v[203:204]
	v_mul_f64 v[189:190], v[185:186], s[46:47]
	v_mul_f64 v[201:202], v[175:176], s[46:47]
	s_mov_b32 s49, 0x3fea55e2
	s_mov_b32 s48, s20
	v_add_f64 v[0:1], v[4:5], v[0:1]
	v_fma_f64 v[4:5], v[161:162], s[26:27], -v[86:87]
	v_add_f64 v[159:160], v[40:41], v[44:45]
	v_mul_f64 v[90:91], v[165:166], s[42:43]
	v_add_f64 v[163:164], v[42:43], v[46:47]
	v_mul_f64 v[92:93], v[187:188], s[42:43]
	v_mul_f64 v[106:107], v[165:166], s[38:39]
	;; [unrolled: 1-line block ×3, first 2 shown]
	v_add_f64 v[12:13], v[171:172], v[12:13]
	v_fma_f64 v[226:227], v[133:134], s[8:9], v[157:158]
	v_fma_f64 v[228:229], v[161:162], s[8:9], -v[169:170]
	v_mul_f64 v[167:168], v[165:166], s[34:35]
	v_mul_f64 v[171:172], v[187:188], s[34:35]
	v_add_f64 v[222:223], v[205:206], v[222:223]
	v_add_f64 v[224:225], v[224:225], v[191:192]
	v_fma_f64 v[230:231], v[133:134], s[28:29], v[189:190]
	v_fma_f64 v[232:233], v[161:162], s[28:29], -v[201:202]
	v_mul_f64 v[191:192], v[165:166], s[48:49]
	v_mul_f64 v[205:206], v[187:188], s[48:49]
	v_add_f64 v[2:3], v[4:5], v[2:3]
	v_fma_f64 v[4:5], v[159:160], s[28:29], v[90:91]
	v_fma_f64 v[14:15], v[163:164], s[28:29], -v[92:93]
	v_fma_f64 v[8:9], v[159:160], s[4:5], v[106:107]
	v_fma_f64 v[218:219], v[163:164], s[4:5], -v[131:132]
	v_add_f64 v[226:227], v[226:227], v[12:13]
	v_add_f64 v[220:221], v[228:229], v[220:221]
	v_fma_f64 v[228:229], v[159:160], s[26:27], v[167:168]
	v_fma_f64 v[234:235], v[163:164], s[26:27], -v[171:172]
	v_add_f64 v[222:223], v[230:231], v[222:223]
	v_add_f64 v[224:225], v[232:233], v[224:225]
	;; [unrolled: 4-line block ×3, first 2 shown]
	v_add_f64 v[8:9], v[8:9], v[6:7]
	v_add_f64 v[10:11], v[218:219], v[10:11]
	;; [unrolled: 1-line block ×6, first 2 shown]
	v_mul_lo_u16_e32 v216, 13, v213
	s_barrier
	s_and_saveexec_b64 s[24:25], s[0:1]
	s_cbranch_execz .LBB0_7
; %bb.6:
	v_mul_f64 v[218:219], v[100:101], s[28:29]
	v_mul_f64 v[220:221], v[149:150], s[42:43]
	;; [unrolled: 1-line block ×8, first 2 shown]
	v_fma_f64 v[224:225], v[114:115], s[46:47], v[218:219]
	v_fma_f64 v[228:229], v[98:99], s[28:29], v[220:221]
	;; [unrolled: 1-line block ×6, first 2 shown]
	v_fma_f64 v[220:221], v[98:99], s[28:29], -v[220:221]
	v_mul_f64 v[244:245], v[183:184], s[48:49]
	v_add_f64 v[224:225], v[18:19], v[224:225]
	v_add_f64 v[228:229], v[16:17], v[228:229]
	v_fma_f64 v[222:223], v[139:140], s[38:39], v[222:223]
	v_fma_f64 v[226:227], v[108:109], s[4:5], -v[226:227]
	v_add_f64 v[218:219], v[18:19], v[218:219]
	v_mul_f64 v[230:231], v[163:164], s[10:11]
	v_add_f64 v[220:221], v[16:17], v[220:221]
	v_fma_f64 v[232:233], v[143:144], s[34:35], v[232:233]
	v_add_f64 v[224:225], v[238:239], v[224:225]
	v_fma_f64 v[238:239], v[123:124], s[26:27], v[234:235]
	v_add_f64 v[228:229], v[240:241], v[228:229]
	v_mul_f64 v[240:241], v[185:186], s[18:19]
	v_add_f64 v[218:219], v[222:223], v[218:219]
	v_mul_f64 v[222:223], v[165:166], s[40:41]
	v_add_f64 v[220:221], v[226:227], v[220:221]
	v_fma_f64 v[226:227], v[175:176], s[44:45], v[236:237]
	v_add_f64 v[224:225], v[246:247], v[224:225]
	v_fma_f64 v[246:247], v[153:154], s[20:21], v[242:243]
	;; [unrolled: 2-line block ×3, first 2 shown]
	v_add_f64 v[232:233], v[232:233], v[218:219]
	v_mul_f64 v[149:150], v[149:150], s[34:35]
	v_fma_f64 v[218:219], v[123:124], s[26:27], -v[234:235]
	v_mul_f64 v[248:249], v[100:101], s[26:27]
	v_fma_f64 v[234:235], v[159:160], s[10:11], v[222:223]
	v_add_f64 v[224:225], v[246:247], v[224:225]
	v_fma_f64 v[246:247], v[133:134], s[16:17], v[240:241]
	v_add_f64 v[228:229], v[238:239], v[228:229]
	v_mul_f64 v[173:174], v[173:174], s[40:41]
	v_fma_f64 v[242:243], v[153:154], s[48:49], v[242:243]
	v_fma_f64 v[244:245], v[127:128], s[8:9], -v[244:245]
	v_mul_f64 v[238:239], v[110:111], s[10:11]
	v_fma_f64 v[250:251], v[114:115], s[36:37], v[248:249]
	v_add_f64 v[224:225], v[226:227], v[224:225]
	v_fma_f64 v[226:227], v[187:188], s[30:31], v[230:231]
	v_add_f64 v[228:229], v[246:247], v[228:229]
	v_add_f64 v[246:247], v[218:219], v[220:221]
	v_mul_f64 v[177:178], v[177:178], s[20:21]
	v_fma_f64 v[230:231], v[187:188], s[40:41], v[230:231]
	v_mul_f64 v[183:184], v[183:184], s[46:47]
	v_fma_f64 v[114:115], v[114:115], s[34:35], v[248:249]
	v_fma_f64 v[240:241], v[133:134], s[16:17], -v[240:241]
	v_add_f64 v[220:221], v[226:227], v[224:225]
	v_fma_f64 v[224:225], v[98:99], s[26:27], v[149:150]
	v_add_f64 v[218:219], v[234:235], v[228:229]
	v_fma_f64 v[226:227], v[175:176], s[18:19], v[236:237]
	v_add_f64 v[228:229], v[242:243], v[232:233]
	v_add_f64 v[242:243], v[244:245], v[246:247]
	v_fma_f64 v[244:245], v[108:109], s[10:11], v[173:174]
	v_mul_f64 v[232:233], v[125:126], s[8:9]
	v_fma_f64 v[234:235], v[139:140], s[30:31], v[238:239]
	v_add_f64 v[224:225], v[16:17], v[224:225]
	v_add_f64 v[236:237], v[18:19], v[250:251]
	v_fma_f64 v[246:247], v[123:124], s[8:9], v[177:178]
	v_add_f64 v[226:227], v[226:227], v[228:229]
	v_mul_f64 v[228:229], v[129:130], s[28:29]
	v_fma_f64 v[139:140], v[139:140], s[40:41], v[238:239]
	v_add_f64 v[114:115], v[18:19], v[114:115]
	v_add_f64 v[240:241], v[240:241], v[242:243]
	;; [unrolled: 1-line block ×4, first 2 shown]
	v_fma_f64 v[236:237], v[143:144], s[48:49], v[232:233]
	v_add_f64 v[224:225], v[230:231], v[226:227]
	v_fma_f64 v[230:231], v[127:128], s[28:29], v[183:184]
	v_mul_f64 v[242:243], v[161:162], s[4:5]
	v_fma_f64 v[149:150], v[98:99], s[26:27], -v[149:150]
	v_fma_f64 v[143:144], v[143:144], s[20:21], v[232:233]
	v_add_f64 v[226:227], v[246:247], v[244:245]
	v_mul_f64 v[244:245], v[100:101], s[4:5]
	v_add_f64 v[234:235], v[236:237], v[234:235]
	v_fma_f64 v[236:237], v[153:154], s[42:43], v[228:229]
	v_mul_f64 v[232:233], v[100:101], s[10:11]
	v_add_f64 v[114:115], v[139:140], v[114:115]
	v_fma_f64 v[222:223], v[159:160], s[10:11], -v[222:223]
	v_fma_f64 v[246:247], v[175:176], s[22:23], v[242:243]
	v_add_f64 v[226:227], v[230:231], v[226:227]
	v_mul_f64 v[230:231], v[100:101], s[8:9]
	v_mul_f64 v[100:101], v[100:101], s[16:17]
	v_add_f64 v[234:235], v[236:237], v[234:235]
	v_mul_f64 v[185:186], v[185:186], s[38:39]
	v_fma_f64 v[173:174], v[108:109], s[10:11], -v[173:174]
	v_add_f64 v[149:150], v[16:17], v[149:150]
	v_fma_f64 v[153:154], v[153:154], s[46:47], v[228:229]
	v_add_f64 v[114:115], v[143:144], v[114:115]
	v_add_f64 v[222:223], v[222:223], v[240:241]
	;; [unrolled: 1-line block ×3, first 2 shown]
	v_mul_f64 v[209:210], v[110:111], s[26:27]
	v_mul_f64 v[240:241], v[98:99], s[4:5]
	v_mul_f64 v[236:237], v[98:99], s[8:9]
	v_mul_f64 v[238:239], v[98:99], s[10:11]
	v_add_f64 v[234:235], v[246:247], v[234:235]
	v_fma_f64 v[246:247], v[133:134], s[4:5], v[185:186]
	v_mul_f64 v[98:99], v[98:99], s[16:17]
	v_mul_f64 v[139:140], v[163:164], s[16:17]
	v_add_f64 v[149:150], v[173:174], v[149:150]
	v_fma_f64 v[177:178], v[123:124], s[8:9], -v[177:178]
	v_add_f64 v[114:115], v[153:154], v[114:115]
	v_fma_f64 v[153:154], v[127:128], s[28:29], -v[183:184]
	v_mul_f64 v[183:184], v[125:126], s[4:5]
	v_add_f64 v[207:208], v[207:208], v[209:210]
	v_add_f64 v[100:101], v[18:19], v[100:101]
	;; [unrolled: 1-line block ×3, first 2 shown]
	v_mul_f64 v[246:247], v[108:109], s[8:9]
	v_fma_f64 v[143:144], v[187:188], s[44:45], v[139:140]
	v_fma_f64 v[139:140], v[187:188], s[18:19], v[139:140]
	v_mul_f64 v[187:188], v[108:109], s[16:17]
	v_fma_f64 v[175:176], v[175:176], s[38:39], v[242:243]
	v_mul_f64 v[242:243], v[108:109], s[28:29]
	v_mul_f64 v[108:109], v[108:109], s[26:27]
	v_add_f64 v[149:150], v[177:178], v[149:150]
	v_add_f64 v[183:184], v[211:212], v[183:184]
	v_mul_f64 v[211:212], v[129:130], s[10:11]
	v_add_f64 v[100:101], v[207:208], v[100:101]
	v_add_f64 v[98:99], v[98:99], -v[195:196]
	v_mul_f64 v[177:178], v[123:124], s[10:11]
	v_add_f64 v[114:115], v[175:176], v[114:115]
	v_mul_f64 v[175:176], v[123:124], s[28:29]
	v_add_f64 v[149:150], v[153:154], v[149:150]
	v_mul_f64 v[207:208], v[123:124], s[16:17]
	v_fma_f64 v[185:186], v[133:134], s[4:5], -v[185:186]
	v_mul_f64 v[123:124], v[123:124], s[4:5]
	v_add_f64 v[203:204], v[203:204], v[211:212]
	v_mul_f64 v[211:212], v[161:162], s[28:29]
	v_add_f64 v[100:101], v[183:184], v[100:101]
	v_add_f64 v[108:109], v[108:109], -v[193:194]
	v_add_f64 v[98:99], v[16:17], v[98:99]
	v_mul_f64 v[195:196], v[127:128], s[16:17]
	v_add_f64 v[149:150], v[185:186], v[149:150]
	v_mul_f64 v[185:186], v[127:128], s[26:27]
	v_add_f64 v[123:124], v[123:124], -v[199:200]
	v_add_f64 v[201:202], v[201:202], v[211:212]
	v_mul_f64 v[211:212], v[163:164], s[8:9]
	v_mul_f64 v[199:200], v[127:128], s[4:5]
	;; [unrolled: 1-line block ×3, first 2 shown]
	v_add_f64 v[98:99], v[108:109], v[98:99]
	v_add_f64 v[100:101], v[203:204], v[100:101]
	v_mul_f64 v[228:229], v[110:111], s[8:9]
	v_mul_f64 v[173:174], v[110:111], s[16:17]
	;; [unrolled: 1-line block ×3, first 2 shown]
	v_add_f64 v[205:206], v[205:206], v[211:212]
	v_add_f64 v[181:182], v[181:182], v[232:233]
	v_add_f64 v[108:109], v[127:128], -v[197:198]
	v_add_f64 v[98:99], v[123:124], v[98:99]
	v_add_f64 v[100:101], v[201:202], v[100:101]
	;; [unrolled: 1-line block ×4, first 2 shown]
	v_mul_f64 v[209:210], v[125:126], s[10:11]
	v_mul_f64 v[153:154], v[125:126], s[28:29]
	;; [unrolled: 1-line block ×3, first 2 shown]
	v_add_f64 v[110:111], v[179:180], v[110:111]
	v_add_f64 v[232:233], v[108:109], v[98:99]
	;; [unrolled: 1-line block ×8, first 2 shown]
	v_mul_f64 v[183:184], v[129:130], s[16:17]
	v_mul_f64 v[193:194], v[129:130], s[26:27]
	;; [unrolled: 1-line block ×3, first 2 shown]
	v_add_f64 v[125:126], v[151:152], v[125:126]
	v_add_f64 v[135:136], v[238:239], -v[135:136]
	v_add_f64 v[110:111], v[110:111], v[139:140]
	v_add_f64 v[112:113], v[112:113], v[173:174]
	v_add_f64 v[100:101], v[18:19], v[100:101]
	v_add_f64 v[22:23], v[22:23], v[30:31]
	v_add_f64 v[20:21], v[20:21], v[28:29]
	v_mul_f64 v[203:204], v[161:162], s[26:27]
	v_mul_f64 v[127:128], v[161:162], s[10:11]
	;; [unrolled: 1-line block ×3, first 2 shown]
	v_add_f64 v[24:25], v[155:156], v[129:130]
	v_add_f64 v[26:27], v[242:243], -v[141:142]
	v_add_f64 v[129:130], v[16:17], v[135:136]
	v_add_f64 v[110:111], v[125:126], v[110:111]
	;; [unrolled: 1-line block ×7, first 2 shown]
	v_add_f64 v[30:31], v[207:208], -v[145:146]
	v_add_f64 v[26:27], v[26:27], v[129:130]
	v_add_f64 v[24:25], v[24:25], v[110:111]
	;; [unrolled: 1-line block ×7, first 2 shown]
	v_mul_f64 v[248:249], v[133:134], s[26:27]
	v_add_f64 v[26:27], v[30:31], v[26:27]
	v_add_f64 v[24:25], v[28:29], v[24:25]
	;; [unrolled: 1-line block ×6, first 2 shown]
	v_add_f64 v[40:41], v[236:237], -v[88:89]
	v_add_f64 v[18:19], v[18:19], v[70:71]
	v_add_f64 v[70:71], v[246:247], -v[72:73]
	v_add_f64 v[42:43], v[187:188], -v[94:95]
	v_mul_f64 v[123:124], v[133:134], s[28:29]
	v_add_f64 v[28:29], v[28:29], v[30:31]
	v_add_f64 v[30:31], v[240:241], -v[68:69]
	v_add_f64 v[22:23], v[22:23], v[46:47]
	v_add_f64 v[20:21], v[20:21], v[44:45]
	;; [unrolled: 1-line block ×4, first 2 shown]
	v_add_f64 v[46:47], v[177:178], -v[76:77]
	v_mul_f64 v[211:212], v[133:134], s[10:11]
	v_mul_f64 v[133:134], v[133:134], s[8:9]
	v_add_f64 v[30:31], v[16:17], v[30:31]
	v_add_f64 v[16:17], v[16:17], v[40:41]
	;; [unrolled: 1-line block ×5, first 2 shown]
	v_add_f64 v[40:41], v[175:176], -v[96:97]
	v_add_f64 v[48:49], v[82:83], v[183:184]
	v_mul_f64 v[201:202], v[159:160], s[8:9]
	v_add_f64 v[30:31], v[70:71], v[30:31]
	v_add_f64 v[16:17], v[42:43], v[16:17]
	;; [unrolled: 1-line block ×5, first 2 shown]
	v_add_f64 v[44:45], v[195:196], -v[80:81]
	v_add_f64 v[42:43], v[185:186], -v[102:103]
	v_mul_f64 v[165:166], v[165:166], s[18:19]
	v_add_f64 v[30:31], v[46:47], v[30:31]
	v_add_f64 v[16:17], v[40:41], v[16:17]
	v_add_f64 v[34:35], v[199:200], -v[147:148]
	v_mul_f64 v[179:180], v[163:164], s[4:5]
	v_add_f64 v[22:23], v[22:23], v[58:59]
	v_add_f64 v[20:21], v[20:21], v[56:57]
	v_mul_f64 v[197:198], v[159:160], s[28:29]
	v_add_f64 v[123:124], v[123:124], -v[189:190]
	v_mul_f64 v[189:190], v[163:164], s[28:29]
	v_mul_f64 v[163:164], v[163:164], s[26:27]
	v_add_f64 v[46:47], v[86:87], v[203:204]
	v_add_f64 v[18:19], v[48:49], v[18:19]
	v_add_f64 v[48:49], v[248:249], -v[84:85]
	v_add_f64 v[30:31], v[44:45], v[30:31]
	v_mul_f64 v[250:251], v[159:160], s[4:5]
	v_add_f64 v[40:41], v[211:212], -v[104:105]
	v_add_f64 v[16:17], v[42:43], v[16:17]
	v_add_f64 v[191:192], v[201:202], -v[191:192]
	v_fma_f64 v[201:202], v[159:160], s[16:17], v[165:166]
	v_fma_f64 v[165:166], v[159:160], s[16:17], -v[165:166]
	v_mul_f64 v[159:160], v[159:160], s[26:27]
	v_add_f64 v[38:39], v[133:134], -v[157:158]
	v_add_f64 v[26:27], v[34:35], v[26:27]
	v_add_f64 v[34:35], v[131:132], v[179:180]
	;; [unrolled: 1-line block ×7, first 2 shown]
	v_add_f64 v[50:51], v[197:198], -v[90:91]
	v_add_f64 v[48:49], v[48:49], v[30:31]
	v_add_f64 v[42:43], v[250:251], -v[106:107]
	v_add_f64 v[16:17], v[40:41], v[16:17]
	;; [unrolled: 2-line block ×3, first 2 shown]
	v_add_f64 v[123:124], v[123:124], v[232:233]
	v_add_f64 v[22:23], v[34:35], v[28:29]
	;; [unrolled: 1-line block ×11, first 2 shown]
	v_add_lshl_u32 v32, v217, v216, 4
	v_add_f64 v[98:99], v[143:144], v[234:235]
	v_add_f64 v[96:97], v[201:202], v[226:227]
	ds_write_b128 v32, v[28:31]
	ds_write_b128 v32, v[24:27] offset:16
	ds_write_b128 v32, v[20:23] offset:32
	ds_write_b128 v32, v[16:19] offset:48
	ds_write_b128 v32, v[112:115] offset:64
	ds_write_b128 v32, v[106:109] offset:80
	ds_write_b128 v32, v[222:225] offset:96
	ds_write_b128 v32, v[218:221] offset:112
	ds_write_b128 v32, v[96:99] offset:128
	ds_write_b128 v32, v[0:3] offset:144
	ds_write_b128 v32, v[4:7] offset:160
	ds_write_b128 v32, v[8:11] offset:176
	ds_write_b128 v32, v[12:15] offset:192
.LBB0_7:
	s_or_b64 exec, exec, s[24:25]
	s_movk_i32 s8, 0x4f
	v_mul_lo_u16_sdwa v16, v213, s8 dst_sel:DWORD dst_unused:UNUSED_PAD src0_sel:BYTE_0 src1_sel:DWORD
	v_lshrrev_b16_e32 v76, 10, v16
	v_mul_lo_u16_e32 v16, 13, v76
	v_sub_u16_e32 v77, v213, v16
	v_mov_b32_e32 v28, 5
	v_lshlrev_b32_sdwa v24, v28, v77 dst_sel:DWORD dst_unused:UNUSED_PAD src0_sel:DWORD src1_sel:BYTE_0
	s_load_dwordx4 s[4:7], s[6:7], 0x0
	s_waitcnt lgkmcnt(0)
	s_barrier
	global_load_dwordx4 v[16:19], v24, s[2:3] offset:16
	global_load_dwordx4 v[20:23], v24, s[2:3]
	v_add_u16_e32 v24, 39, v213
	v_mul_lo_u16_sdwa v25, v24, s8 dst_sel:DWORD dst_unused:UNUSED_PAD src0_sel:BYTE_0 src1_sel:DWORD
	v_lshrrev_b16_e32 v78, 10, v25
	v_mul_lo_u16_e32 v25, 13, v78
	v_sub_u16_e32 v79, v24, v25
	v_lshlrev_b32_sdwa v29, v28, v79 dst_sel:DWORD dst_unused:UNUSED_PAD src0_sel:DWORD src1_sel:BYTE_0
	global_load_dwordx4 v[24:27], v29, s[2:3] offset:16
	global_load_dwordx4 v[32:35], v29, s[2:3]
	v_add_u16_e32 v29, 0x4e, v213
	v_mul_lo_u16_sdwa v30, v29, s8 dst_sel:DWORD dst_unused:UNUSED_PAD src0_sel:BYTE_0 src1_sel:DWORD
	v_lshrrev_b16_e32 v80, 10, v30
	v_mul_lo_u16_e32 v30, 13, v80
	v_sub_u16_e32 v81, v29, v30
	v_lshlrev_b32_sdwa v40, v28, v81 dst_sel:DWORD dst_unused:UNUSED_PAD src0_sel:DWORD src1_sel:BYTE_0
	global_load_dwordx4 v[36:39], v40, s[2:3]
	global_load_dwordx4 v[28:31], v40, s[2:3] offset:16
	v_add_lshl_u32 v170, v217, v213, 4
	v_mul_u32_u24_e32 v76, 39, v76
	v_mul_u32_u24_e32 v78, 39, v78
	;; [unrolled: 1-line block ×3, first 2 shown]
	ds_read_b128 v[40:43], v170
	ds_read_b128 v[44:47], v170 offset:624
	ds_read_b128 v[48:51], v170 offset:3744
	;; [unrolled: 1-line block ×8, first 2 shown]
	v_add_u32_sdwa v76, v76, v77 dst_sel:DWORD dst_unused:UNUSED_PAD src0_sel:DWORD src1_sel:BYTE_0
	v_add_u32_sdwa v77, v78, v79 dst_sel:DWORD dst_unused:UNUSED_PAD src0_sel:DWORD src1_sel:BYTE_0
	;; [unrolled: 1-line block ×3, first 2 shown]
	v_add_lshl_u32 v174, v217, v76, 4
	v_add_lshl_u32 v173, v217, v77, 4
	;; [unrolled: 1-line block ×3, first 2 shown]
	s_mov_b32 s8, 0xe8584caa
	s_mov_b32 s9, 0x3febb67a
	;; [unrolled: 1-line block ×4, first 2 shown]
	s_waitcnt vmcnt(0) lgkmcnt(0)
	s_barrier
	s_mov_b32 s17, 0x3fe491b7
	s_mov_b32 s16, 0x523c161c
	;; [unrolled: 1-line block ×10, first 2 shown]
	v_lshl_add_u32 v171, v213, 4, v215
	v_lshl_add_u32 v169, v213, 4, v215
	v_mul_f64 v[80:81], v[50:51], v[18:19]
	v_mul_f64 v[76:77], v[58:59], v[22:23]
	;; [unrolled: 1-line block ×8, first 2 shown]
	v_fma_f64 v[56:57], v[56:57], v[20:21], -v[76:77]
	v_fma_f64 v[58:59], v[58:59], v[20:21], v[78:79]
	v_fma_f64 v[48:49], v[48:49], v[16:17], -v[80:81]
	v_mul_f64 v[92:93], v[70:71], v[38:39]
	v_mul_f64 v[94:95], v[68:69], v[38:39]
	;; [unrolled: 1-line block ×4, first 2 shown]
	v_fma_f64 v[50:51], v[50:51], v[16:17], v[82:83]
	v_fma_f64 v[64:65], v[64:65], v[32:33], -v[84:85]
	v_fma_f64 v[66:67], v[66:67], v[32:33], v[86:87]
	v_fma_f64 v[52:53], v[52:53], v[24:25], -v[88:89]
	;; [unrolled: 2-line block ×4, first 2 shown]
	v_fma_f64 v[74:75], v[74:75], v[28:29], v[98:99]
	v_add_f64 v[78:79], v[56:57], v[48:49]
	v_add_f64 v[80:81], v[58:59], -v[50:51]
	v_add_f64 v[82:83], v[42:43], v[58:59]
	v_add_f64 v[58:59], v[58:59], v[50:51]
	;; [unrolled: 1-line block ×4, first 2 shown]
	v_add_f64 v[88:89], v[66:67], -v[54:55]
	v_add_f64 v[90:91], v[46:47], v[66:67]
	v_add_f64 v[66:67], v[66:67], v[54:55]
	v_add_f64 v[84:85], v[56:57], -v[48:49]
	v_add_f64 v[56:57], v[44:45], v[64:65]
	v_add_f64 v[92:93], v[64:65], -v[52:53]
	v_add_f64 v[64:65], v[60:61], v[68:69]
	v_add_f64 v[94:95], v[68:69], v[72:73]
	v_add_f64 v[96:97], v[70:71], -v[74:75]
	v_add_f64 v[98:99], v[62:63], v[70:71]
	v_add_f64 v[70:71], v[70:71], v[74:75]
	v_add_f64 v[100:101], v[68:69], -v[72:73]
	v_fma_f64 v[68:69], v[78:79], -0.5, v[40:41]
	v_fma_f64 v[58:59], v[58:59], -0.5, v[42:43]
	v_add_f64 v[48:49], v[76:77], v[48:49]
	v_fma_f64 v[76:77], v[86:87], -0.5, v[44:45]
	v_fma_f64 v[66:67], v[66:67], -0.5, v[46:47]
	v_add_f64 v[44:45], v[64:65], v[72:73]
	v_fma_f64 v[72:73], v[94:95], -0.5, v[60:61]
	v_add_f64 v[46:47], v[98:99], v[74:75]
	;; [unrolled: 2-line block ×3, first 2 shown]
	v_add_f64 v[40:41], v[56:57], v[52:53]
	v_add_f64 v[42:43], v[90:91], v[54:55]
	v_fma_f64 v[52:53], v[80:81], s[8:9], v[68:69]
	v_fma_f64 v[54:55], v[84:85], s[10:11], v[58:59]
	;; [unrolled: 1-line block ×12, first 2 shown]
	ds_write_b128 v174, v[48:51]
	ds_write_b128 v174, v[52:55] offset:208
	ds_write_b128 v174, v[56:59] offset:416
	ds_write_b128 v173, v[40:43]
	ds_write_b128 v173, v[60:63] offset:208
	ds_write_b128 v173, v[64:67] offset:416
	;; [unrolled: 3-line block ×3, first 2 shown]
	v_lshlrev_b32_e32 v72, 7, v213
	s_waitcnt lgkmcnt(0)
	s_barrier
	global_load_dwordx4 v[56:59], v72, s[2:3] offset:416
	global_load_dwordx4 v[48:51], v72, s[2:3] offset:432
	;; [unrolled: 1-line block ×8, first 2 shown]
	ds_read_b128 v[72:75], v170
	ds_read_b128 v[76:79], v170 offset:624
	ds_read_b128 v[80:83], v170 offset:1248
	;; [unrolled: 1-line block ×8, first 2 shown]
	s_mov_b32 s8, 0xe8584cab
	s_mov_b32 s10, s8
	;; [unrolled: 1-line block ×4, first 2 shown]
	s_waitcnt vmcnt(7) lgkmcnt(7)
	v_mul_f64 v[108:109], v[78:79], v[58:59]
	v_mul_f64 v[110:111], v[76:77], v[58:59]
	s_waitcnt vmcnt(6) lgkmcnt(6)
	v_mul_f64 v[112:113], v[82:83], v[50:51]
	v_mul_f64 v[114:115], v[80:81], v[50:51]
	s_waitcnt vmcnt(5) lgkmcnt(5)
	v_mul_f64 v[116:117], v[86:87], v[46:47]
	s_waitcnt vmcnt(4) lgkmcnt(4)
	v_mul_f64 v[121:122], v[90:91], v[42:43]
	v_mul_f64 v[123:124], v[88:89], v[42:43]
	s_waitcnt vmcnt(0) lgkmcnt(0)
	v_mul_f64 v[137:138], v[106:107], v[70:71]
	v_mul_f64 v[139:140], v[104:105], v[70:71]
	;; [unrolled: 1-line block ×9, first 2 shown]
	v_fma_f64 v[76:77], v[76:77], v[56:57], -v[108:109]
	v_fma_f64 v[78:79], v[78:79], v[56:57], v[110:111]
	v_fma_f64 v[104:105], v[104:105], v[68:69], -v[137:138]
	v_fma_f64 v[106:107], v[106:107], v[68:69], v[139:140]
	v_fma_f64 v[80:81], v[80:81], v[48:49], -v[112:113]
	v_fma_f64 v[82:83], v[82:83], v[48:49], v[114:115]
	v_fma_f64 v[84:85], v[84:85], v[44:45], -v[116:117]
	v_fma_f64 v[88:89], v[88:89], v[40:41], -v[121:122]
	v_fma_f64 v[90:91], v[90:91], v[40:41], v[123:124]
	v_fma_f64 v[100:101], v[100:101], v[64:65], -v[133:134]
	v_fma_f64 v[102:103], v[102:103], v[64:65], v[135:136]
	v_fma_f64 v[96:97], v[96:97], v[60:61], -v[129:130]
	v_fma_f64 v[92:93], v[92:93], v[52:53], -v[125:126]
	v_fma_f64 v[94:95], v[94:95], v[52:53], v[127:128]
	v_fma_f64 v[86:87], v[86:87], v[44:45], v[118:119]
	v_fma_f64 v[98:99], v[98:99], v[60:61], v[131:132]
	v_add_f64 v[108:109], v[76:77], v[104:105]
	v_add_f64 v[110:111], v[78:79], v[106:107]
	v_add_f64 v[104:105], v[76:77], -v[104:105]
	v_add_f64 v[106:107], v[78:79], -v[106:107]
	v_add_f64 v[112:113], v[80:81], v[100:101]
	v_add_f64 v[114:115], v[82:83], v[102:103]
	;; [unrolled: 1-line block ×3, first 2 shown]
	v_add_f64 v[76:77], v[80:81], -v[100:101]
	v_add_f64 v[78:79], v[82:83], -v[102:103]
	;; [unrolled: 1-line block ×4, first 2 shown]
	v_add_f64 v[82:83], v[88:89], v[92:93]
	v_add_f64 v[100:101], v[90:91], v[94:95]
	v_add_f64 v[84:85], v[90:91], -v[94:95]
	v_add_f64 v[118:119], v[86:87], v[98:99]
	v_add_f64 v[98:99], v[86:87], -v[98:99]
	v_mul_f64 v[86:87], v[104:105], s[16:17]
	v_mul_f64 v[102:103], v[106:107], s[16:17]
	s_mov_b32 s17, 0xbfe491b7
	v_fma_f64 v[121:122], v[108:109], s[24:25], v[72:73]
	v_fma_f64 v[123:124], v[110:111], s[24:25], v[74:75]
	;; [unrolled: 1-line block ×4, first 2 shown]
	v_mul_f64 v[149:150], v[80:81], s[16:17]
	v_mul_f64 v[151:152], v[84:85], s[16:17]
	v_fma_f64 v[86:87], v[76:77], s[20:21], v[86:87]
	v_fma_f64 v[102:103], v[78:79], s[20:21], v[102:103]
	;; [unrolled: 1-line block ×8, first 2 shown]
	v_mul_f64 v[141:142], v[80:81], s[20:21]
	v_mul_f64 v[143:144], v[84:85], s[20:21]
	v_fma_f64 v[145:146], v[112:113], s[24:25], v[72:73]
	v_fma_f64 v[147:148], v[114:115], s[24:25], v[74:75]
	v_fma_f64 v[86:87], v[96:97], s[8:9], v[86:87]
	v_fma_f64 v[102:103], v[98:99], s[8:9], v[102:103]
	v_fma_f64 v[121:122], v[116:117], -0.5, v[121:122]
	v_fma_f64 v[123:124], v[118:119], -0.5, v[123:124]
	;; [unrolled: 1-line block ×4, first 2 shown]
	v_fma_f64 v[149:150], v[96:97], s[10:11], v[149:150]
	v_fma_f64 v[151:152], v[98:99], s[10:11], v[151:152]
	v_add_f64 v[129:130], v[80:81], v[104:105]
	v_add_f64 v[131:132], v[84:85], v[106:107]
	;; [unrolled: 1-line block ×4, first 2 shown]
	v_fma_f64 v[86:87], v[80:81], s[2:3], v[86:87]
	v_fma_f64 v[84:85], v[84:85], s[2:3], v[102:103]
	;; [unrolled: 1-line block ×4, first 2 shown]
	v_fma_f64 v[121:122], v[76:77], s[16:17], -v[141:142]
	v_fma_f64 v[123:124], v[78:79], s[16:17], -v[143:144]
	v_fma_f64 v[112:113], v[112:113], s[18:19], v[125:126]
	v_fma_f64 v[114:115], v[114:115], s[18:19], v[127:128]
	;; [unrolled: 1-line block ×6, first 2 shown]
	v_add_f64 v[133:134], v[72:73], v[116:117]
	v_add_f64 v[135:136], v[74:75], v[118:119]
	v_add_f64 v[129:130], v[129:130], -v[76:77]
	v_add_f64 v[131:132], v[131:132], -v[78:79]
	v_add_f64 v[153:154], v[82:83], v[137:138]
	v_add_f64 v[76:77], v[84:85], v[80:81]
	v_add_f64 v[78:79], v[102:103], -v[86:87]
	v_add_f64 v[102:103], v[116:117], v[137:138]
	v_add_f64 v[137:138], v[118:119], v[139:140]
	;; [unrolled: 1-line block ×3, first 2 shown]
	v_add_f64 v[82:83], v[114:115], -v[127:128]
	v_add_f64 v[100:101], v[100:101], v[139:140]
	v_fma_f64 v[96:97], v[96:97], s[8:9], v[121:122]
	v_fma_f64 v[98:99], v[98:99], s[8:9], v[123:124]
	v_fma_f64 v[112:113], v[116:117], -0.5, v[141:142]
	v_fma_f64 v[114:115], v[118:119], -0.5, v[143:144]
	v_add_f64 v[88:89], v[88:89], v[102:103]
	v_add_f64 v[90:91], v[90:91], v[137:138]
	v_fma_f64 v[102:103], v[153:154], -0.5, v[133:134]
	v_fma_f64 v[100:101], v[100:101], -0.5, v[135:136]
	v_fma_f64 v[116:117], v[104:105], s[2:3], v[96:97]
	v_fma_f64 v[104:105], v[106:107], s[2:3], v[98:99]
	;; [unrolled: 1-line block ×4, first 2 shown]
	v_add_f64 v[106:107], v[92:93], v[88:89]
	v_add_f64 v[108:109], v[94:95], v[90:91]
	v_mul_f64 v[110:111], v[129:130], s[8:9]
	v_mul_f64 v[112:113], v[131:132], s[8:9]
	v_fma_f64 v[88:89], v[131:132], s[8:9], v[102:103]
	v_fma_f64 v[90:91], v[129:130], s[10:11], v[100:101]
	v_add_f64 v[92:93], v[104:105], v[96:97]
	v_add_f64 v[94:95], v[98:99], -v[116:117]
	v_fma_f64 v[84:85], v[84:85], -2.0, v[76:77]
	v_fma_f64 v[86:87], v[86:87], 2.0, v[78:79]
	v_add_f64 v[72:73], v[72:73], v[106:107]
	v_add_f64 v[74:75], v[74:75], v[108:109]
	v_fma_f64 v[100:101], v[125:126], -2.0, v[80:81]
	v_fma_f64 v[102:103], v[127:128], 2.0, v[82:83]
	v_fma_f64 v[96:97], v[112:113], -2.0, v[88:89]
	v_fma_f64 v[98:99], v[110:111], 2.0, v[90:91]
	;; [unrolled: 2-line block ×3, first 2 shown]
	ds_write_b128 v171, v[72:75]
	ds_write_b128 v169, v[76:79] offset:624
	ds_write_b128 v169, v[80:83] offset:1248
	ds_write_b128 v169, v[88:91] offset:1872
	ds_write_b128 v169, v[92:95] offset:2496
	ds_write_b128 v169, v[104:107] offset:3120
	ds_write_b128 v169, v[96:99] offset:3744
	ds_write_b128 v169, v[100:103] offset:4368
	ds_write_b128 v169, v[84:87] offset:4992
	s_waitcnt lgkmcnt(0)
	s_barrier
	s_and_saveexec_b64 s[2:3], s[0:1]
	s_cbranch_execz .LBB0_9
; %bb.8:
	v_mov_b32_e32 v108, s15
	v_add_co_u32_e32 v149, vcc, s14, v214
	v_addc_co_u32_e32 v150, vcc, 0, v108, vcc
	v_add_co_u32_e32 v145, vcc, 0x15f0, v149
	v_addc_co_u32_e32 v146, vcc, 0, v150, vcc
	;; [unrolled: 2-line block ×3, first 2 shown]
	global_load_dwordx4 v[108:111], v[108:109], off offset:1520
	s_nop 0
	global_load_dwordx4 v[112:115], v[145:146], off offset:432
	global_load_dwordx4 v[116:119], v[145:146], off offset:864
	global_load_dwordx4 v[121:124], v[145:146], off offset:1296
	global_load_dwordx4 v[125:128], v[145:146], off offset:1728
	global_load_dwordx4 v[129:132], v[145:146], off offset:2160
	s_movk_i32 s8, 0x2000
	v_add_co_u32_e32 v157, vcc, s8, v149
	v_addc_co_u32_e32 v158, vcc, 0, v150, vcc
	global_load_dwordx4 v[133:136], v[145:146], off offset:2592
	global_load_dwordx4 v[137:140], v[145:146], off offset:3024
	;; [unrolled: 1-line block ×3, first 2 shown]
	s_nop 0
	global_load_dwordx4 v[145:148], v[145:146], off offset:3888
	s_nop 0
	global_load_dwordx4 v[149:152], v[157:158], off offset:1744
	global_load_dwordx4 v[153:156], v[157:158], off offset:2176
	s_nop 0
	global_load_dwordx4 v[157:160], v[157:158], off offset:2608
	ds_read_b128 v[161:164], v171
	s_waitcnt vmcnt(12) lgkmcnt(0)
	v_mul_f64 v[165:166], v[163:164], v[110:111]
	v_mul_f64 v[110:111], v[161:162], v[110:111]
	v_fma_f64 v[161:162], v[161:162], v[108:109], -v[165:166]
	v_fma_f64 v[163:164], v[163:164], v[108:109], v[110:111]
	ds_write_b128 v171, v[161:164]
	ds_read_b128 v[108:111], v169 offset:432
	ds_read_b128 v[161:164], v169 offset:864
	;; [unrolled: 1-line block ×12, first 2 shown]
	s_waitcnt vmcnt(11) lgkmcnt(11)
	v_mul_f64 v[211:212], v[110:111], v[114:115]
	v_mul_f64 v[114:115], v[108:109], v[114:115]
	s_waitcnt vmcnt(10) lgkmcnt(10)
	v_mul_f64 v[217:218], v[163:164], v[118:119]
	v_mul_f64 v[118:119], v[161:162], v[118:119]
	;; [unrolled: 3-line block ×12, first 2 shown]
	v_fma_f64 v[108:109], v[108:109], v[112:113], -v[211:212]
	v_fma_f64 v[110:111], v[110:111], v[112:113], v[114:115]
	v_fma_f64 v[112:113], v[161:162], v[116:117], -v[217:218]
	v_fma_f64 v[114:115], v[163:164], v[116:117], v[118:119]
	;; [unrolled: 2-line block ×12, first 2 shown]
	ds_write_b128 v169, v[108:111] offset:432
	ds_write_b128 v169, v[112:115] offset:864
	;; [unrolled: 1-line block ×12, first 2 shown]
.LBB0_9:
	s_or_b64 exec, exec, s[2:3]
	s_waitcnt lgkmcnt(0)
	s_barrier
	s_and_saveexec_b64 s[2:3], s[0:1]
	s_cbranch_execz .LBB0_11
; %bb.10:
	ds_read_b128 v[72:75], v171
	ds_read_b128 v[76:79], v171 offset:432
	ds_read_b128 v[80:83], v171 offset:864
	;; [unrolled: 1-line block ×12, first 2 shown]
.LBB0_11:
	s_or_b64 exec, exec, s[2:3]
	s_waitcnt lgkmcnt(0)
	s_barrier
	s_and_saveexec_b64 s[2:3], s[0:1]
	s_cbranch_execz .LBB0_13
; %bb.12:
	v_add_f64 v[167:168], v[76:77], -v[12:13]
	s_mov_b32 s20, 0x4bc48dbf
	s_mov_b32 s21, 0xbfcea1e5
	v_add_f64 v[165:166], v[80:81], -v[8:9]
	v_add_f64 v[135:136], v[78:79], v[14:15]
	s_mov_b32 s18, 0x93053d00
	s_mov_b32 s23, 0x3fddbe06
	;; [unrolled: 1-line block ×3, first 2 shown]
	v_mul_f64 v[116:117], v[167:168], s[20:21]
	s_mov_b32 s19, 0xbfef11f4
	v_add_f64 v[139:140], v[88:89], -v[4:5]
	v_mul_f64 v[118:119], v[165:166], s[22:23]
	v_add_f64 v[131:132], v[82:83], v[10:11]
	v_add_f64 v[147:148], v[78:79], -v[14:15]
	s_mov_b32 s28, 0x24c2f84
	s_mov_b32 s24, 0xe00740e9
	v_fma_f64 v[137:138], v[135:136], s[18:19], v[116:117]
	s_mov_b32 s29, 0xbfe5384d
	s_mov_b32 s25, 0x3fec55a7
	v_add_f64 v[129:130], v[92:93], -v[0:1]
	v_mul_f64 v[151:152], v[139:140], s[28:29]
	v_add_f64 v[133:134], v[90:91], v[6:7]
	v_fma_f64 v[141:142], v[131:132], s[24:25], v[118:119]
	v_add_f64 v[145:146], v[82:83], -v[10:11]
	v_add_f64 v[149:150], v[74:75], v[137:138]
	v_add_f64 v[143:144], v[76:77], v[12:13]
	v_mul_f64 v[157:158], v[147:148], s[20:21]
	s_mov_b32 s40, 0x42a4c3d2
	s_mov_b32 s41, 0x3fea55e2
	v_mul_f64 v[114:115], v[129:130], s[40:41]
	v_add_f64 v[137:138], v[94:95], v[2:3]
	v_fma_f64 v[153:154], v[133:134], s[26:27], v[151:152]
	v_add_f64 v[155:156], v[141:142], v[149:150]
	v_add_f64 v[149:150], v[90:91], -v[6:7]
	v_add_f64 v[141:142], v[80:81], v[8:9]
	v_mul_f64 v[175:176], v[145:146], s[22:23]
	v_fma_f64 v[161:162], v[143:144], s[18:19], -v[157:158]
	v_fma_f64 v[116:117], v[135:136], s[18:19], -v[116:117]
	s_mov_b32 s30, 0x1ea71119
	s_mov_b32 s31, 0x3fe22d96
	v_add_f64 v[127:128], v[104:105], -v[84:85]
	v_fma_f64 v[163:164], v[137:138], s[30:31], v[114:115]
	v_add_f64 v[153:154], v[153:154], v[155:156]
	v_add_f64 v[159:160], v[94:95], -v[2:3]
	v_add_f64 v[155:156], v[88:89], v[4:5]
	v_mul_f64 v[177:178], v[149:150], s[28:29]
	v_fma_f64 v[179:180], v[141:142], s[24:25], -v[175:176]
	v_add_f64 v[181:182], v[72:73], v[161:162]
	v_fma_f64 v[118:119], v[131:132], s[24:25], -v[118:119]
	v_add_f64 v[116:117], v[74:75], v[116:117]
	s_mov_b32 s16, 0x2ef20147
	s_mov_b32 s17, 0xbfedeba7
	v_add_f64 v[125:126], v[96:97], -v[100:101]
	v_add_f64 v[123:124], v[106:107], v[86:87]
	v_mul_f64 v[108:109], v[127:128], s[16:17]
	v_add_f64 v[183:184], v[163:164], v[153:154]
	v_add_f64 v[161:162], v[106:107], -v[86:87]
	v_add_f64 v[153:154], v[92:93], v[0:1]
	v_mul_f64 v[185:186], v[159:160], s[40:41]
	v_fma_f64 v[187:188], v[155:156], s[26:27], -v[177:178]
	v_add_f64 v[179:180], v[179:180], v[181:182]
	v_fma_f64 v[181:182], v[133:134], s[26:27], -v[151:152]
	v_add_f64 v[116:117], v[118:119], v[116:117]
	v_fma_f64 v[191:192], v[143:144], s[18:19], v[157:158]
	s_mov_b32 s34, 0x66966769
	s_mov_b32 s10, 0xb2365da1
	s_mov_b32 s35, 0x3fefc445
	s_mov_b32 s11, 0xbfd6b1d8
	v_add_f64 v[121:122], v[98:99], v[102:103]
	v_mul_f64 v[110:111], v[125:126], s[34:35]
	v_fma_f64 v[112:113], v[123:124], s[10:11], v[108:109]
	v_add_f64 v[163:164], v[98:99], -v[102:103]
	v_add_f64 v[151:152], v[104:105], v[84:85]
	v_mul_f64 v[118:119], v[161:162], s[16:17]
	v_fma_f64 v[189:190], v[153:154], s[30:31], -v[185:186]
	v_add_f64 v[179:180], v[187:188], v[179:180]
	v_fma_f64 v[114:115], v[137:138], s[30:31], -v[114:115]
	v_add_f64 v[116:117], v[181:182], v[116:117]
	v_fma_f64 v[175:176], v[141:142], s[24:25], v[175:176]
	v_add_f64 v[191:192], v[72:73], v[191:192]
	s_mov_b32 s8, 0xebaa3ed8
	s_mov_b32 s9, 0x3fbedb7d
	v_add_f64 v[157:158], v[96:97], v[100:101]
	v_mul_f64 v[181:182], v[163:164], s[34:35]
	v_fma_f64 v[187:188], v[151:152], s[10:11], -v[118:119]
	v_add_f64 v[179:180], v[189:190], v[179:180]
	v_add_f64 v[114:115], v[114:115], v[116:117]
	v_fma_f64 v[116:117], v[121:122], s[8:9], v[110:111]
	v_add_f64 v[112:113], v[112:113], v[183:184]
	v_fma_f64 v[177:178], v[155:156], s[26:27], v[177:178]
	v_add_f64 v[175:176], v[175:176], v[191:192]
	v_mul_f64 v[189:190], v[167:168], s[28:29]
	v_fma_f64 v[108:109], v[123:124], s[10:11], -v[108:109]
	v_fma_f64 v[183:184], v[157:158], s[8:9], -v[181:182]
	v_add_f64 v[179:180], v[187:188], v[179:180]
	v_fma_f64 v[187:188], v[121:122], s[8:9], -v[110:111]
	v_add_f64 v[110:111], v[116:117], v[112:113]
	v_mul_f64 v[116:117], v[165:166], s[34:35]
	v_add_f64 v[175:176], v[177:178], v[175:176]
	v_fma_f64 v[177:178], v[135:136], s[26:27], v[189:190]
	v_fma_f64 v[189:190], v[135:136], s[26:27], -v[189:190]
	s_mov_b32 s37, 0xbfea55e2
	s_mov_b32 s36, s40
	v_add_f64 v[114:115], v[108:109], v[114:115]
	v_fma_f64 v[185:186], v[153:154], s[30:31], v[185:186]
	v_add_f64 v[108:109], v[183:184], v[179:180]
	v_fma_f64 v[112:113], v[157:158], s[8:9], v[181:182]
	v_mul_f64 v[179:180], v[147:148], s[28:29]
	v_mul_f64 v[181:182], v[139:140], s[36:37]
	v_fma_f64 v[183:184], v[131:132], s[8:9], v[116:117]
	v_add_f64 v[177:178], v[74:75], v[177:178]
	v_fma_f64 v[116:117], v[131:132], s[8:9], -v[116:117]
	v_add_f64 v[189:190], v[74:75], v[189:190]
	s_mov_b32 s45, 0x3fcea1e5
	s_mov_b32 s44, s20
	v_add_f64 v[114:115], v[187:188], v[114:115]
	v_add_f64 v[175:176], v[185:186], v[175:176]
	v_mul_f64 v[185:186], v[145:146], s[34:35]
	v_fma_f64 v[187:188], v[143:144], s[26:27], -v[179:180]
	v_mul_f64 v[191:192], v[129:130], s[44:45]
	v_fma_f64 v[193:194], v[133:134], s[30:31], v[181:182]
	v_add_f64 v[177:178], v[183:184], v[177:178]
	v_fma_f64 v[181:182], v[133:134], s[30:31], -v[181:182]
	v_add_f64 v[116:117], v[116:117], v[189:190]
	v_mul_f64 v[183:184], v[127:128], s[22:23]
	v_mul_f64 v[195:196], v[149:150], s[36:37]
	v_fma_f64 v[197:198], v[141:142], s[8:9], -v[185:186]
	v_add_f64 v[187:188], v[72:73], v[187:188]
	v_fma_f64 v[199:200], v[137:138], s[18:19], v[191:192]
	v_add_f64 v[177:178], v[193:194], v[177:178]
	v_fma_f64 v[191:192], v[137:138], s[18:19], -v[191:192]
	v_add_f64 v[116:117], v[181:182], v[116:117]
	v_fma_f64 v[179:180], v[143:144], s[26:27], v[179:180]
	v_fma_f64 v[118:119], v[151:152], s[10:11], v[118:119]
	v_mul_f64 v[193:194], v[125:126], s[16:17]
	v_mul_f64 v[201:202], v[159:160], s[44:45]
	v_fma_f64 v[203:204], v[155:156], s[30:31], -v[195:196]
	v_add_f64 v[187:188], v[197:198], v[187:188]
	v_fma_f64 v[197:198], v[123:124], s[24:25], v[183:184]
	v_add_f64 v[177:178], v[199:200], v[177:178]
	v_fma_f64 v[183:184], v[123:124], s[24:25], -v[183:184]
	v_add_f64 v[116:117], v[191:192], v[116:117]
	v_fma_f64 v[185:186], v[141:142], s[8:9], v[185:186]
	v_add_f64 v[179:180], v[72:73], v[179:180]
	v_add_f64 v[118:119], v[118:119], v[175:176]
	v_mul_f64 v[175:176], v[161:162], s[22:23]
	v_fma_f64 v[189:190], v[153:154], s[18:19], -v[201:202]
	v_add_f64 v[187:188], v[203:204], v[187:188]
	v_fma_f64 v[199:200], v[121:122], s[10:11], v[193:194]
	v_add_f64 v[177:178], v[197:198], v[177:178]
	v_mul_f64 v[191:192], v[167:168], s[16:17]
	v_add_f64 v[183:184], v[183:184], v[116:117]
	v_fma_f64 v[116:117], v[155:156], s[30:31], v[195:196]
	v_add_f64 v[179:180], v[185:186], v[179:180]
	v_mul_f64 v[185:186], v[147:148], s[16:17]
	s_mov_b32 s43, 0x3fe5384d
	s_mov_b32 s42, s28
	v_fma_f64 v[197:198], v[151:152], s[24:25], -v[175:176]
	v_add_f64 v[187:188], v[189:190], v[187:188]
	v_add_f64 v[112:113], v[112:113], v[118:119]
	;; [unrolled: 1-line block ×3, first 2 shown]
	v_fma_f64 v[189:190], v[121:122], s[10:11], -v[193:194]
	v_mul_f64 v[193:194], v[165:166], s[42:43]
	v_fma_f64 v[195:196], v[135:136], s[10:11], v[191:192]
	v_add_f64 v[116:117], v[116:117], v[179:180]
	v_mul_f64 v[199:200], v[145:146], s[42:43]
	v_fma_f64 v[179:180], v[143:144], s[10:11], -v[185:186]
	v_fma_f64 v[191:192], v[135:136], s[10:11], -v[191:192]
	v_add_f64 v[187:188], v[197:198], v[187:188]
	v_fma_f64 v[197:198], v[153:154], s[18:19], v[201:202]
	v_mul_f64 v[201:202], v[139:140], s[22:23]
	v_fma_f64 v[203:204], v[131:132], s[26:27], v[193:194]
	v_add_f64 v[195:196], v[74:75], v[195:196]
	v_mul_f64 v[205:206], v[149:150], s[22:23]
	v_fma_f64 v[207:208], v[141:142], s[26:27], -v[199:200]
	v_add_f64 v[179:180], v[72:73], v[179:180]
	v_fma_f64 v[193:194], v[131:132], s[26:27], -v[193:194]
	v_add_f64 v[191:192], v[74:75], v[191:192]
	s_mov_b32 s39, 0xbfefc445
	s_mov_b32 s38, s34
	v_mul_f64 v[181:182], v[163:164], s[16:17]
	v_mul_f64 v[209:210], v[129:130], s[38:39]
	v_fma_f64 v[211:212], v[133:134], s[24:25], v[201:202]
	v_add_f64 v[195:196], v[203:204], v[195:196]
	v_add_f64 v[116:117], v[197:198], v[116:117]
	v_mul_f64 v[197:198], v[159:160], s[38:39]
	v_fma_f64 v[203:204], v[155:156], s[24:25], -v[205:206]
	v_add_f64 v[179:180], v[207:208], v[179:180]
	v_fma_f64 v[201:202], v[133:134], s[24:25], -v[201:202]
	v_add_f64 v[191:192], v[193:194], v[191:192]
	v_fma_f64 v[177:178], v[157:158], s[10:11], -v[181:182]
	v_fma_f64 v[175:176], v[151:152], s[24:25], v[175:176]
	v_mul_f64 v[207:208], v[127:128], s[44:45]
	v_fma_f64 v[217:218], v[137:138], s[8:9], v[209:210]
	v_add_f64 v[195:196], v[211:212], v[195:196]
	v_mul_f64 v[211:212], v[161:162], s[44:45]
	v_fma_f64 v[219:220], v[153:154], s[8:9], -v[197:198]
	v_add_f64 v[179:180], v[203:204], v[179:180]
	v_fma_f64 v[209:210], v[137:138], s[8:9], -v[209:210]
	v_add_f64 v[191:192], v[201:202], v[191:192]
	v_mul_f64 v[203:204], v[125:126], s[40:41]
	v_fma_f64 v[221:222], v[123:124], s[18:19], v[207:208]
	v_add_f64 v[195:196], v[217:218], v[195:196]
	v_mul_f64 v[193:194], v[163:164], s[40:41]
	v_fma_f64 v[217:218], v[151:152], s[18:19], -v[211:212]
	v_add_f64 v[179:180], v[219:220], v[179:180]
	v_add_f64 v[175:176], v[175:176], v[116:117]
	;; [unrolled: 1-line block ×4, first 2 shown]
	v_fma_f64 v[183:184], v[143:144], s[10:11], v[185:186]
	v_fma_f64 v[185:186], v[123:124], s[18:19], -v[207:208]
	v_add_f64 v[187:188], v[209:210], v[191:192]
	v_fma_f64 v[181:182], v[157:158], s[10:11], v[181:182]
	v_fma_f64 v[219:220], v[121:122], s[30:31], v[203:204]
	v_add_f64 v[195:196], v[221:222], v[195:196]
	v_fma_f64 v[201:202], v[157:158], s[30:31], -v[193:194]
	v_add_f64 v[179:180], v[217:218], v[179:180]
	v_fma_f64 v[189:190], v[141:142], s[26:27], v[199:200]
	v_mul_f64 v[191:192], v[167:168], s[38:39]
	v_add_f64 v[183:184], v[72:73], v[183:184]
	v_add_f64 v[185:186], v[185:186], v[187:188]
	v_fma_f64 v[187:188], v[153:154], s[8:9], v[197:198]
	v_mul_f64 v[197:198], v[147:148], s[38:39]
	v_add_f64 v[175:176], v[181:182], v[175:176]
	v_add_f64 v[181:182], v[219:220], v[195:196]
	;; [unrolled: 1-line block ×3, first 2 shown]
	v_fma_f64 v[195:196], v[121:122], s[30:31], -v[203:204]
	v_fma_f64 v[199:200], v[155:156], s[24:25], v[205:206]
	v_mul_f64 v[201:202], v[165:166], s[20:21]
	v_fma_f64 v[203:204], v[135:136], s[8:9], v[191:192]
	v_add_f64 v[183:184], v[189:190], v[183:184]
	v_mul_f64 v[205:206], v[145:146], s[20:21]
	v_fma_f64 v[189:190], v[143:144], s[8:9], -v[197:198]
	s_mov_b32 s41, 0x3fedeba7
	s_mov_b32 s40, s16
	v_mul_f64 v[207:208], v[139:140], s[40:41]
	v_fma_f64 v[209:210], v[131:132], s[18:19], v[201:202]
	v_add_f64 v[203:204], v[74:75], v[203:204]
	v_add_f64 v[183:184], v[199:200], v[183:184]
	v_fma_f64 v[199:200], v[151:152], s[18:19], v[211:212]
	v_mul_f64 v[211:212], v[149:150], s[40:41]
	v_fma_f64 v[217:218], v[141:142], s[18:19], -v[205:206]
	v_add_f64 v[189:190], v[72:73], v[189:190]
	v_mul_f64 v[219:220], v[129:130], s[22:23]
	v_fma_f64 v[221:222], v[133:134], s[10:11], v[207:208]
	v_add_f64 v[203:204], v[209:210], v[203:204]
	v_add_f64 v[183:184], v[187:188], v[183:184]
	v_mul_f64 v[209:210], v[159:160], s[22:23]
	v_fma_f64 v[187:188], v[155:156], s[10:11], -v[211:212]
	v_fma_f64 v[191:192], v[135:136], s[8:9], -v[191:192]
	v_add_f64 v[189:190], v[217:218], v[189:190]
	v_mul_f64 v[217:218], v[127:128], s[36:37]
	v_fma_f64 v[223:224], v[137:138], s[24:25], v[219:220]
	v_add_f64 v[203:204], v[221:222], v[203:204]
	v_mul_f64 v[221:222], v[161:162], s[36:37]
	v_fma_f64 v[225:226], v[153:154], s[24:25], -v[209:210]
	v_fma_f64 v[201:202], v[131:132], s[18:19], -v[201:202]
	v_add_f64 v[191:192], v[74:75], v[191:192]
	v_add_f64 v[187:188], v[187:188], v[189:190]
	v_mul_f64 v[227:228], v[125:126], s[28:29]
	v_fma_f64 v[189:190], v[123:124], s[30:31], v[217:218]
	v_add_f64 v[203:204], v[223:224], v[203:204]
	v_mul_f64 v[223:224], v[163:164], s[28:29]
	v_fma_f64 v[229:230], v[151:152], s[30:31], -v[221:222]
	v_fma_f64 v[207:208], v[133:134], s[10:11], -v[207:208]
	v_add_f64 v[191:192], v[201:202], v[191:192]
	v_add_f64 v[187:188], v[225:226], v[187:188]
	v_fma_f64 v[193:194], v[157:158], s[30:31], v[193:194]
	v_add_f64 v[183:184], v[199:200], v[183:184]
	v_fma_f64 v[199:200], v[121:122], s[26:27], v[227:228]
	v_add_f64 v[189:190], v[189:190], v[203:204]
	v_fma_f64 v[201:202], v[157:158], s[26:27], -v[223:224]
	v_fma_f64 v[203:204], v[137:138], s[24:25], -v[219:220]
	v_add_f64 v[191:192], v[207:208], v[191:192]
	v_add_f64 v[187:188], v[229:230], v[187:188]
	;; [unrolled: 1-line block ×4, first 2 shown]
	v_fma_f64 v[193:194], v[143:144], s[8:9], v[197:198]
	v_mul_f64 v[197:198], v[167:168], s[36:37]
	v_add_f64 v[189:190], v[199:200], v[189:190]
	v_fma_f64 v[195:196], v[123:124], s[30:31], -v[217:218]
	v_add_f64 v[191:192], v[203:204], v[191:192]
	v_add_f64 v[187:188], v[201:202], v[187:188]
	v_fma_f64 v[199:200], v[141:142], s[18:19], v[205:206]
	v_mul_f64 v[201:202], v[147:148], s[36:37]
	v_add_f64 v[193:194], v[72:73], v[193:194]
	v_mul_f64 v[205:206], v[165:166], s[16:17]
	v_fma_f64 v[207:208], v[135:136], s[30:31], v[197:198]
	v_add_f64 v[78:79], v[74:75], v[78:79]
	v_add_f64 v[191:192], v[195:196], v[191:192]
	v_fma_f64 v[195:196], v[155:156], s[10:11], v[211:212]
	v_mul_f64 v[211:212], v[145:146], s[16:17]
	v_fma_f64 v[217:218], v[143:144], s[30:31], -v[201:202]
	v_add_f64 v[193:194], v[199:200], v[193:194]
	v_mul_f64 v[199:200], v[139:140], s[20:21]
	v_fma_f64 v[219:220], v[131:132], s[10:11], v[205:206]
	v_add_f64 v[207:208], v[74:75], v[207:208]
	v_add_f64 v[76:77], v[72:73], v[76:77]
	v_fma_f64 v[203:204], v[121:122], s[26:27], -v[227:228]
	v_mul_f64 v[225:226], v[149:150], s[20:21]
	v_fma_f64 v[227:228], v[141:142], s[10:11], -v[211:212]
	v_add_f64 v[217:218], v[72:73], v[217:218]
	v_add_f64 v[193:194], v[195:196], v[193:194]
	v_mul_f64 v[195:196], v[129:130], s[42:43]
	v_fma_f64 v[229:230], v[133:134], s[18:19], v[199:200]
	v_add_f64 v[207:208], v[219:220], v[207:208]
	v_add_f64 v[78:79], v[78:79], v[82:83]
	;; [unrolled: 1-line block ×3, first 2 shown]
	v_fma_f64 v[231:232], v[155:156], s[18:19], -v[225:226]
	v_add_f64 v[217:218], v[227:228], v[217:218]
	v_fma_f64 v[197:198], v[135:136], s[30:31], -v[197:198]
	v_fma_f64 v[227:228], v[137:138], s[26:27], v[195:196]
	v_fma_f64 v[205:206], v[131:132], s[10:11], -v[205:206]
	v_add_f64 v[207:208], v[229:230], v[207:208]
	v_add_f64 v[78:79], v[78:79], v[90:91]
	;; [unrolled: 1-line block ×3, first 2 shown]
	v_fma_f64 v[201:202], v[143:144], s[30:31], v[201:202]
	v_add_f64 v[217:218], v[231:232], v[217:218]
	v_mul_f64 v[231:232], v[125:126], s[22:23]
	v_add_f64 v[197:198], v[74:75], v[197:198]
	v_fma_f64 v[199:200], v[133:134], s[18:19], -v[199:200]
	v_add_f64 v[207:208], v[227:228], v[207:208]
	v_mul_f64 v[227:228], v[163:164], s[22:23]
	s_mov_b32 s23, 0xbfddbe06
	v_add_f64 v[78:79], v[78:79], v[94:95]
	v_add_f64 v[92:93], v[76:77], v[92:93]
	v_mul_f64 v[167:168], v[167:168], s[22:23]
	v_add_f64 v[197:198], v[205:206], v[197:198]
	v_fma_f64 v[205:206], v[141:142], s[10:11], v[211:212]
	v_add_f64 v[201:202], v[72:73], v[201:202]
	v_mul_f64 v[165:166], v[165:166], s[36:37]
	v_fma_f64 v[219:220], v[151:152], s[30:31], v[221:222]
	v_add_f64 v[78:79], v[78:79], v[106:107]
	v_add_f64 v[92:93], v[92:93], v[104:105]
	v_fma_f64 v[211:212], v[135:136], s[24:25], v[167:168]
	v_mul_f64 v[104:105], v[147:148], s[22:23]
	v_mul_f64 v[221:222], v[159:160], s[42:43]
	v_fma_f64 v[195:196], v[137:138], s[26:27], -v[195:196]
	v_add_f64 v[197:198], v[199:200], v[197:198]
	v_fma_f64 v[199:200], v[155:156], s[18:19], v[225:226]
	v_add_f64 v[78:79], v[78:79], v[98:99]
	v_add_f64 v[92:93], v[92:93], v[96:97]
	;; [unrolled: 1-line block ×3, first 2 shown]
	v_mul_f64 v[139:140], v[139:140], s[38:39]
	v_fma_f64 v[205:206], v[131:132], s[30:31], v[165:166]
	v_add_f64 v[211:212], v[74:75], v[211:212]
	v_fma_f64 v[135:136], v[135:136], s[24:25], -v[167:168]
	v_mul_f64 v[145:146], v[145:146], s[36:37]
	v_fma_f64 v[96:97], v[143:144], s[24:25], v[104:105]
	v_fma_f64 v[104:105], v[143:144], s[24:25], -v[104:105]
	v_add_f64 v[78:79], v[78:79], v[102:103]
	v_add_f64 v[92:93], v[92:93], v[100:101]
	v_fma_f64 v[209:210], v[153:154], s[24:25], v[209:210]
	v_mul_f64 v[229:230], v[161:162], s[34:35]
	v_add_f64 v[80:81], v[195:196], v[197:198]
	v_fma_f64 v[82:83], v[153:154], s[26:27], v[221:222]
	v_add_f64 v[195:196], v[199:200], v[201:202]
	v_mul_f64 v[129:130], v[129:130], s[16:17]
	v_fma_f64 v[197:198], v[133:134], s[8:9], v[139:140]
	v_add_f64 v[199:200], v[205:206], v[211:212]
	v_mul_f64 v[98:99], v[149:150], s[38:39]
	v_fma_f64 v[131:132], v[131:132], s[30:31], -v[165:166]
	v_add_f64 v[74:75], v[74:75], v[135:136]
	v_fma_f64 v[135:136], v[141:142], s[30:31], v[145:146]
	v_add_f64 v[96:97], v[72:73], v[96:97]
	v_fma_f64 v[100:101], v[141:142], s[30:31], -v[145:146]
	v_add_f64 v[72:73], v[72:73], v[104:105]
	v_add_f64 v[78:79], v[78:79], v[86:87]
	;; [unrolled: 1-line block ×4, first 2 shown]
	v_mul_f64 v[209:210], v[127:128], s[34:35]
	v_fma_f64 v[88:89], v[151:152], s[8:9], v[229:230]
	v_add_f64 v[82:83], v[82:83], v[195:196]
	v_mul_f64 v[90:91], v[127:128], s[28:29]
	v_fma_f64 v[127:128], v[137:138], s[10:11], v[129:130]
	v_add_f64 v[195:196], v[197:198], v[199:200]
	v_mul_f64 v[147:148], v[159:160], s[16:17]
	v_fma_f64 v[102:103], v[133:134], s[8:9], -v[139:140]
	v_add_f64 v[74:75], v[131:132], v[74:75]
	v_fma_f64 v[104:105], v[155:156], s[8:9], v[98:99]
	v_add_f64 v[86:87], v[135:136], v[96:97]
	v_fma_f64 v[92:93], v[155:156], s[8:9], -v[98:99]
	v_add_f64 v[72:73], v[100:101], v[72:73]
	v_add_f64 v[2:3], v[78:79], v[2:3]
	;; [unrolled: 1-line block ×4, first 2 shown]
	v_mul_f64 v[88:89], v[125:126], s[20:21]
	v_add_f64 v[125:126], v[127:128], v[195:196]
	v_mul_f64 v[127:128], v[161:162], s[28:29]
	v_fma_f64 v[96:97], v[137:138], s[10:11], -v[129:130]
	v_add_f64 v[74:75], v[102:103], v[74:75]
	v_fma_f64 v[98:99], v[153:154], s[10:11], v[147:148]
	v_add_f64 v[78:79], v[104:105], v[86:87]
	v_fma_f64 v[223:224], v[157:158], s[26:27], v[223:224]
	;; [unrolled: 2-line block ×3, first 2 shown]
	v_fma_f64 v[209:210], v[123:124], s[8:9], -v[209:210]
	v_fma_f64 v[84:85], v[153:154], s[10:11], -v[147:148]
	v_add_f64 v[72:73], v[92:93], v[72:73]
	v_fma_f64 v[233:234], v[153:154], s[26:27], -v[221:222]
	v_add_f64 v[2:3], v[2:3], v[6:7]
	v_add_f64 v[0:1], v[0:1], v[4:5]
	v_fma_f64 v[94:95], v[123:124], s[26:27], v[90:91]
	v_mul_f64 v[106:107], v[163:164], s[20:21]
	v_fma_f64 v[86:87], v[123:124], s[26:27], -v[90:91]
	v_add_f64 v[74:75], v[96:97], v[74:75]
	v_fma_f64 v[90:91], v[151:152], s[26:27], v[127:128]
	v_add_f64 v[4:5], v[98:99], v[78:79]
	v_add_f64 v[193:194], v[203:204], v[191:192]
	;; [unrolled: 1-line block ×3, first 2 shown]
	v_fma_f64 v[223:224], v[121:122], s[24:25], -v[231:232]
	v_add_f64 v[80:81], v[209:210], v[80:81]
	v_fma_f64 v[6:7], v[151:152], s[26:27], -v[127:128]
	v_add_f64 v[72:73], v[84:85], v[72:73]
	;; [unrolled: 2-line block ×3, first 2 shown]
	v_add_f64 v[10:11], v[2:3], v[10:11]
	v_add_f64 v[0:1], v[0:1], v[8:9]
	v_fma_f64 v[78:79], v[121:122], s[18:19], -v[88:89]
	v_add_f64 v[74:75], v[86:87], v[74:75]
	v_fma_f64 v[84:85], v[157:158], s[18:19], v[106:107]
	v_add_f64 v[8:9], v[90:91], v[4:5]
	v_add_f64 v[76:77], v[223:224], v[80:81]
	v_fma_f64 v[80:81], v[157:158], s[24:25], v[227:228]
	v_fma_f64 v[90:91], v[157:158], s[18:19], -v[106:107]
	v_add_f64 v[72:73], v[6:7], v[72:73]
	v_fma_f64 v[203:204], v[121:122], s[24:25], v[231:232]
	v_add_f64 v[207:208], v[235:236], v[207:208]
	v_fma_f64 v[219:220], v[157:158], s[24:25], -v[227:228]
	v_add_f64 v[217:218], v[237:238], v[217:218]
	v_fma_f64 v[86:87], v[121:122], s[18:19], v[88:89]
	v_add_f64 v[88:89], v[94:95], v[125:126]
	v_add_f64 v[6:7], v[10:11], v[14:15]
	;; [unrolled: 1-line block ×7, first 2 shown]
	v_lshl_add_u32 v72, v216, 4, v215
	v_add_f64 v[10:11], v[203:204], v[207:208]
	v_add_f64 v[8:9], v[219:220], v[217:218]
	v_add_f64 v[14:15], v[86:87], v[88:89]
	ds_write_b128 v72, v[4:7]
	ds_write_b128 v72, v[0:3] offset:16
	ds_write_b128 v72, v[74:77] offset:32
	ds_write_b128 v72, v[191:194] offset:48
	ds_write_b128 v72, v[183:186] offset:64
	ds_write_b128 v72, v[175:178] offset:80
	ds_write_b128 v72, v[112:115] offset:96
	ds_write_b128 v72, v[108:111] offset:112
	ds_write_b128 v72, v[116:119] offset:128
	ds_write_b128 v72, v[179:182] offset:144
	ds_write_b128 v72, v[187:190] offset:160
	ds_write_b128 v72, v[8:11] offset:176
	ds_write_b128 v72, v[12:15] offset:192
.LBB0_13:
	s_or_b64 exec, exec, s[2:3]
	s_waitcnt lgkmcnt(0)
	s_barrier
	ds_read_b128 v[0:3], v170 offset:1872
	ds_read_b128 v[4:7], v170
	ds_read_b128 v[8:11], v170 offset:624
	ds_read_b128 v[12:15], v170 offset:3744
	;; [unrolled: 1-line block ×4, first 2 shown]
	s_waitcnt lgkmcnt(5)
	v_mul_f64 v[92:93], v[22:23], v[2:3]
	v_mul_f64 v[22:23], v[22:23], v[0:1]
	s_waitcnt lgkmcnt(2)
	v_mul_f64 v[94:95], v[18:19], v[14:15]
	v_mul_f64 v[18:19], v[18:19], v[12:13]
	ds_read_b128 v[80:83], v170 offset:2496
	ds_read_b128 v[84:87], v170 offset:3120
	;; [unrolled: 1-line block ×3, first 2 shown]
	s_mov_b32 s2, 0xe8584caa
	v_fma_f64 v[92:93], v[20:21], v[0:1], v[92:93]
	s_waitcnt lgkmcnt(2)
	v_mul_f64 v[96:97], v[34:35], v[82:83]
	v_mul_f64 v[34:35], v[34:35], v[80:81]
	v_fma_f64 v[12:13], v[16:17], v[12:13], v[94:95]
	v_mul_f64 v[0:1], v[26:27], v[74:75]
	v_fma_f64 v[14:15], v[16:17], v[14:15], -v[18:19]
	v_mul_f64 v[16:17], v[26:27], v[72:73]
	v_fma_f64 v[2:3], v[20:21], v[2:3], -v[22:23]
	s_waitcnt lgkmcnt(1)
	v_mul_f64 v[20:21], v[38:39], v[86:87]
	v_fma_f64 v[18:19], v[32:33], v[80:81], v[96:97]
	v_fma_f64 v[22:23], v[32:33], v[82:83], -v[34:35]
	v_add_f64 v[32:33], v[92:93], v[12:13]
	v_fma_f64 v[34:35], v[24:25], v[72:73], v[0:1]
	v_mul_f64 v[26:27], v[38:39], v[84:85]
	v_fma_f64 v[24:25], v[24:25], v[74:75], -v[16:17]
	s_waitcnt lgkmcnt(0)
	v_mul_f64 v[16:17], v[30:31], v[88:89]
	v_mul_f64 v[0:1], v[30:31], v[90:91]
	v_add_f64 v[30:31], v[4:5], v[92:93]
	v_add_f64 v[72:73], v[2:3], v[14:15]
	v_fma_f64 v[38:39], v[36:37], v[84:85], v[20:21]
	v_fma_f64 v[20:21], v[32:33], -0.5, v[4:5]
	v_add_f64 v[32:33], v[2:3], -v[14:15]
	v_fma_f64 v[26:27], v[36:37], v[86:87], -v[26:27]
	v_fma_f64 v[74:75], v[28:29], v[90:91], -v[16:17]
	v_add_f64 v[16:17], v[18:19], v[34:35]
	v_fma_f64 v[36:37], v[28:29], v[88:89], v[0:1]
	v_add_f64 v[0:1], v[30:31], v[12:13]
	v_add_f64 v[2:3], v[6:7], v[2:3]
	v_fma_f64 v[28:29], v[72:73], -0.5, v[6:7]
	v_add_f64 v[30:31], v[92:93], -v[12:13]
	s_mov_b32 s3, 0xbfebb67a
	s_mov_b32 s9, 0x3febb67a
	;; [unrolled: 1-line block ×3, first 2 shown]
	v_fma_f64 v[4:5], v[32:33], s[2:3], v[20:21]
	v_add_f64 v[72:73], v[8:9], v[18:19]
	v_fma_f64 v[12:13], v[32:33], s[8:9], v[20:21]
	v_add_f64 v[32:33], v[22:23], v[24:25]
	v_fma_f64 v[80:81], v[16:17], -0.5, v[8:9]
	v_add_f64 v[82:83], v[22:23], -v[24:25]
	v_add_f64 v[2:3], v[2:3], v[14:15]
	v_fma_f64 v[6:7], v[30:31], s[8:9], v[28:29]
	v_fma_f64 v[14:15], v[30:31], s[2:3], v[28:29]
	v_add_f64 v[28:29], v[38:39], v[36:37]
	v_add_f64 v[30:31], v[26:27], v[74:75]
	;; [unrolled: 1-line block ×4, first 2 shown]
	v_fma_f64 v[32:33], v[32:33], -0.5, v[10:11]
	v_add_f64 v[34:35], v[18:19], -v[34:35]
	v_fma_f64 v[16:17], v[82:83], s[2:3], v[80:81]
	v_fma_f64 v[20:21], v[82:83], s[8:9], v[80:81]
	v_add_f64 v[72:73], v[76:77], v[38:39]
	v_add_f64 v[80:81], v[26:27], -v[74:75]
	v_add_f64 v[26:27], v[78:79], v[26:27]
	v_fma_f64 v[76:77], v[28:29], -0.5, v[76:77]
	v_fma_f64 v[78:79], v[30:31], -0.5, v[78:79]
	v_add_f64 v[38:39], v[38:39], -v[36:37]
	v_add_f64 v[10:11], v[22:23], v[24:25]
	v_fma_f64 v[18:19], v[34:35], s[8:9], v[32:33]
	v_fma_f64 v[22:23], v[34:35], s[2:3], v[32:33]
	v_add_f64 v[24:25], v[72:73], v[36:37]
	v_add_f64 v[26:27], v[26:27], v[74:75]
	v_fma_f64 v[28:29], v[80:81], s[2:3], v[76:77]
	v_fma_f64 v[32:33], v[80:81], s[8:9], v[76:77]
	;; [unrolled: 1-line block ×4, first 2 shown]
	s_barrier
	ds_write_b128 v174, v[0:3]
	ds_write_b128 v174, v[4:7] offset:208
	ds_write_b128 v174, v[12:15] offset:416
	ds_write_b128 v173, v[8:11]
	ds_write_b128 v173, v[16:19] offset:208
	ds_write_b128 v173, v[20:23] offset:416
	;; [unrolled: 3-line block ×3, first 2 shown]
	s_waitcnt lgkmcnt(0)
	s_barrier
	ds_read_b128 v[0:3], v170
	ds_read_b128 v[4:7], v170 offset:624
	ds_read_b128 v[8:11], v170 offset:1248
	;; [unrolled: 1-line block ×5, first 2 shown]
	s_waitcnt lgkmcnt(4)
	v_mul_f64 v[36:37], v[58:59], v[6:7]
	v_mul_f64 v[38:39], v[58:59], v[4:5]
	s_waitcnt lgkmcnt(3)
	v_mul_f64 v[58:59], v[50:51], v[10:11]
	v_mul_f64 v[50:51], v[50:51], v[8:9]
	ds_read_b128 v[24:27], v170 offset:3744
	ds_read_b128 v[28:31], v170 offset:4368
	;; [unrolled: 1-line block ×3, first 2 shown]
	s_waitcnt lgkmcnt(5)
	v_mul_f64 v[72:73], v[46:47], v[14:15]
	s_mov_b32 s11, 0x3fe491b7
	v_fma_f64 v[4:5], v[56:57], v[4:5], v[36:37]
	v_fma_f64 v[6:7], v[56:57], v[6:7], -v[38:39]
	v_mul_f64 v[36:37], v[46:47], v[12:13]
	s_waitcnt lgkmcnt(4)
	v_mul_f64 v[38:39], v[42:43], v[18:19]
	v_fma_f64 v[8:9], v[48:49], v[8:9], v[58:59]
	v_fma_f64 v[10:11], v[48:49], v[10:11], -v[50:51]
	s_waitcnt lgkmcnt(0)
	v_mul_f64 v[46:47], v[70:71], v[34:35]
	v_mul_f64 v[48:49], v[70:71], v[32:33]
	v_fma_f64 v[12:13], v[44:45], v[12:13], v[72:73]
	v_mul_f64 v[42:43], v[42:43], v[16:17]
	v_fma_f64 v[14:15], v[44:45], v[14:15], -v[36:37]
	v_fma_f64 v[16:17], v[40:41], v[16:17], v[38:39]
	v_mul_f64 v[36:37], v[66:67], v[30:31]
	v_mul_f64 v[38:39], v[66:67], v[28:29]
	;; [unrolled: 1-line block ×3, first 2 shown]
	v_fma_f64 v[32:33], v[68:69], v[32:33], v[46:47]
	v_fma_f64 v[34:35], v[68:69], v[34:35], -v[48:49]
	v_fma_f64 v[18:19], v[40:41], v[18:19], -v[42:43]
	v_mul_f64 v[40:41], v[62:63], v[26:27]
	v_mul_f64 v[42:43], v[62:63], v[24:25]
	v_fma_f64 v[28:29], v[64:65], v[28:29], v[36:37]
	v_fma_f64 v[30:31], v[64:65], v[30:31], -v[38:39]
	v_fma_f64 v[36:37], v[52:53], v[20:21], v[44:45]
	v_mul_f64 v[20:21], v[54:55], v[20:21]
	v_add_f64 v[38:39], v[4:5], -v[32:33]
	v_add_f64 v[44:45], v[6:7], -v[34:35]
	s_mov_b32 s10, 0x523c161c
	v_fma_f64 v[24:25], v[60:61], v[24:25], v[40:41]
	v_fma_f64 v[26:27], v[60:61], v[26:27], -v[42:43]
	v_add_f64 v[40:41], v[8:9], -v[28:29]
	v_add_f64 v[42:43], v[10:11], -v[30:31]
	v_fma_f64 v[20:21], v[52:53], v[22:23], -v[20:21]
	v_mul_f64 v[46:47], v[38:39], s[10:11]
	v_mul_f64 v[48:49], v[44:45], s[10:11]
	v_add_f64 v[22:23], v[4:5], v[32:33]
	s_mov_b32 s16, 0x8c811c17
	s_mov_b32 s18, 0xa2cf5039
	;; [unrolled: 1-line block ×4, first 2 shown]
	v_add_f64 v[50:51], v[14:15], -v[26:27]
	v_fma_f64 v[4:5], v[40:41], s[16:17], v[46:47]
	v_fma_f64 v[46:47], v[42:43], s[16:17], v[48:49]
	v_add_f64 v[34:35], v[6:7], v[34:35]
	v_add_f64 v[28:29], v[8:9], v[28:29]
	v_fma_f64 v[8:9], v[22:23], s[18:19], v[0:1]
	s_mov_b32 s20, 0x7e0b738b
	s_mov_b32 s8, 0xe8584cab
	;; [unrolled: 1-line block ×3, first 2 shown]
	v_add_f64 v[32:33], v[12:13], -v[24:25]
	v_add_f64 v[10:11], v[10:11], v[30:31]
	v_add_f64 v[24:25], v[12:13], v[24:25]
	v_fma_f64 v[6:7], v[50:51], s[8:9], v[46:47]
	v_fma_f64 v[12:13], v[34:35], s[18:19], v[2:3]
	v_add_f64 v[30:31], v[16:17], -v[36:37]
	v_add_f64 v[46:47], v[18:19], -v[20:21]
	v_add_f64 v[48:49], v[16:17], v[36:37]
	v_add_f64 v[52:53], v[18:19], v[20:21]
	v_fma_f64 v[8:9], v[28:29], s[20:21], v[8:9]
	s_mov_b32 s22, 0x748a0bf8
	s_mov_b32 s11, 0xbfe491b7
	;; [unrolled: 1-line block ×3, first 2 shown]
	v_add_f64 v[26:27], v[14:15], v[26:27]
	v_fma_f64 v[12:13], v[10:11], s[20:21], v[12:13]
	v_mul_f64 v[14:15], v[30:31], s[10:11]
	v_mul_f64 v[54:55], v[46:47], s[10:11]
	v_fma_f64 v[56:57], v[48:49], s[18:19], v[0:1]
	v_fma_f64 v[58:59], v[52:53], s[18:19], v[2:3]
	;; [unrolled: 1-line block ×3, first 2 shown]
	v_fma_f64 v[6:7], v[24:25], -0.5, v[8:9]
	s_mov_b32 s24, 0x42522d1b
	s_mov_b32 s25, 0xbfee11f6
	v_fma_f64 v[4:5], v[32:33], s[8:9], v[4:5]
	v_fma_f64 v[8:9], v[26:27], -0.5, v[12:13]
	v_fma_f64 v[12:13], v[38:39], s[16:17], v[14:15]
	v_fma_f64 v[14:15], v[44:45], s[16:17], v[54:55]
	;; [unrolled: 1-line block ×5, first 2 shown]
	s_mov_b32 s2, s8
	v_fma_f64 v[58:59], v[30:31], s[22:23], v[4:5]
	v_fma_f64 v[8:9], v[52:53], s[24:25], v[8:9]
	v_fma_f64 v[12:13], v[32:33], s[2:3], v[12:13]
	v_fma_f64 v[14:15], v[50:51], s[2:3], v[14:15]
	v_fma_f64 v[54:55], v[24:25], -0.5, v[54:55]
	v_fma_f64 v[56:57], v[26:27], -0.5, v[56:57]
	v_add_f64 v[4:5], v[6:7], -v[60:61]
	v_fma_f64 v[66:67], v[10:11], s[18:19], v[2:3]
	v_add_f64 v[68:69], v[0:1], v[24:25]
	v_add_f64 v[6:7], v[58:59], v[8:9]
	v_fma_f64 v[62:63], v[40:41], s[22:23], v[12:13]
	v_fma_f64 v[64:65], v[42:43], s[22:23], v[14:15]
	;; [unrolled: 1-line block ×4, first 2 shown]
	v_add_f64 v[54:55], v[30:31], v[38:39]
	v_fma_f64 v[8:9], v[60:61], 2.0, v[4:5]
	v_add_f64 v[56:57], v[46:47], v[44:45]
	v_mul_f64 v[30:31], v[30:31], s[16:17]
	v_mul_f64 v[46:47], v[46:47], s[16:17]
	v_fma_f64 v[60:61], v[28:29], s[18:19], v[0:1]
	v_add_f64 v[28:29], v[28:29], v[22:23]
	v_add_f64 v[10:11], v[10:11], v[34:35]
	v_add_f64 v[54:55], v[54:55], -v[40:41]
	v_add_f64 v[12:13], v[12:13], -v[64:65]
	;; [unrolled: 1-line block ×3, first 2 shown]
	v_fma_f64 v[30:31], v[40:41], s[10:11], -v[30:31]
	v_fma_f64 v[40:41], v[42:43], s[10:11], -v[46:47]
	v_fma_f64 v[42:43], v[48:49], s[20:21], v[60:61]
	v_fma_f64 v[46:47], v[52:53], s[20:21], v[66:67]
	v_add_f64 v[66:67], v[24:25], v[28:29]
	v_add_f64 v[70:71], v[26:27], v[10:11]
	;; [unrolled: 1-line block ×4, first 2 shown]
	v_fma_f64 v[30:31], v[32:33], s[8:9], v[30:31]
	v_fma_f64 v[32:33], v[50:51], s[8:9], v[40:41]
	v_fma_f64 v[24:25], v[24:25], -0.5, v[42:43]
	v_fma_f64 v[26:27], v[26:27], -0.5, v[46:47]
	v_add_f64 v[10:11], v[52:53], v[10:11]
	v_add_f64 v[16:17], v[16:17], v[66:67]
	v_add_f64 v[18:19], v[18:19], v[70:71]
	v_fma_f64 v[28:29], v[28:29], -0.5, v[68:69]
	v_fma_f64 v[30:31], v[38:39], s[22:23], v[30:31]
	v_fma_f64 v[32:33], v[44:45], s[22:23], v[32:33]
	;; [unrolled: 1-line block ×4, first 2 shown]
	v_fma_f64 v[10:11], v[10:11], -0.5, v[60:61]
	v_add_f64 v[26:27], v[36:37], v[16:17]
	v_add_f64 v[34:35], v[20:21], v[18:19]
	v_mul_f64 v[36:37], v[54:55], s[8:9]
	v_mul_f64 v[38:39], v[56:57], s[8:9]
	v_fma_f64 v[16:17], v[56:57], s[2:3], v[28:29]
	v_add_f64 v[20:21], v[22:23], -v[32:33]
	v_add_f64 v[22:23], v[30:31], v[24:25]
	v_fma_f64 v[18:19], v[54:55], s[8:9], v[10:11]
	v_add_f64 v[14:15], v[62:63], v[14:15]
	v_add_f64 v[0:1], v[0:1], v[26:27]
	;; [unrolled: 1-line block ×3, first 2 shown]
	v_fma_f64 v[24:25], v[64:65], 2.0, v[12:13]
	v_fma_f64 v[28:29], v[38:39], 2.0, v[16:17]
	;; [unrolled: 1-line block ×3, first 2 shown]
	v_fma_f64 v[34:35], v[30:31], -2.0, v[22:23]
	v_fma_f64 v[30:31], v[36:37], -2.0, v[18:19]
	v_fma_f64 v[26:27], v[62:63], -2.0, v[14:15]
	v_fma_f64 v[10:11], v[58:59], -2.0, v[6:7]
	ds_write_b128 v171, v[0:3]
	ds_write_b128 v169, v[4:7] offset:624
	ds_write_b128 v169, v[12:15] offset:1248
	;; [unrolled: 1-line block ×8, first 2 shown]
	s_waitcnt lgkmcnt(0)
	s_barrier
	s_and_b64 exec, exec, s[0:1]
	s_cbranch_execz .LBB0_15
; %bb.14:
	global_load_dwordx4 v[0:3], v214, s[14:15]
	global_load_dwordx4 v[4:7], v214, s[14:15] offset:432
	global_load_dwordx4 v[8:11], v214, s[14:15] offset:864
	;; [unrolled: 1-line block ×4, first 2 shown]
	ds_read_b128 v[20:23], v171
	ds_read_b128 v[24:27], v169 offset:432
	ds_read_b128 v[28:31], v169 offset:864
	;; [unrolled: 1-line block ×3, first 2 shown]
	global_load_dwordx4 v[36:39], v214, s[14:15] offset:2160
	ds_read_b128 v[40:43], v169 offset:1728
	ds_read_b128 v[44:47], v169 offset:2160
	global_load_dwordx4 v[48:51], v214, s[14:15] offset:2592
	global_load_dwordx4 v[52:55], v214, s[14:15] offset:3024
	;; [unrolled: 1-line block ×4, first 2 shown]
	v_mad_u64_u32 v[72:73], s[0:1], s6, v120, 0
	v_mad_u64_u32 v[74:75], s[2:3], s4, v213, 0
	v_mov_b32_e32 v64, s15
	v_add_co_u32_e32 v65, vcc, s14, v214
	s_mul_hi_u32 s6, s4, 0x1b0
	s_mul_i32 s2, s4, 0x1b0
	s_movk_i32 s4, 0x1000
	v_addc_co_u32_e32 v64, vcc, 0, v64, vcc
	v_add_co_u32_e32 v76, vcc, s4, v65
	s_mul_i32 s3, s5, 0x1b0
	v_addc_co_u32_e32 v77, vcc, 0, v64, vcc
	v_mov_b32_e32 v64, v73
	v_mov_b32_e32 v65, v75
	s_add_i32 s3, s6, s3
	v_mad_u64_u32 v[78:79], s[6:7], s7, v120, v[64:65]
	v_mad_u64_u32 v[79:80], s[4:5], s5, v213, v[65:66]
	v_mov_b32_e32 v73, v78
	v_lshlrev_b64 v[72:73], 4, v[72:73]
	v_mov_b32_e32 v75, v79
	v_mov_b32_e32 v81, s13
	global_load_dwordx4 v[64:67], v[76:77], off offset:224
	global_load_dwordx4 v[68:71], v[76:77], off offset:656
	v_lshlrev_b64 v[74:75], 4, v[74:75]
	v_add_co_u32_e32 v72, vcc, s12, v72
	v_addc_co_u32_e32 v73, vcc, v81, v73, vcc
	v_add_co_u32_e32 v72, vcc, v72, v74
	v_addc_co_u32_e32 v73, vcc, v73, v75, vcc
	v_mov_b32_e32 v82, s3
	v_add_co_u32_e32 v74, vcc, s2, v72
	v_addc_co_u32_e32 v75, vcc, v73, v82, vcc
	v_mov_b32_e32 v83, s3
	;; [unrolled: 3-line block ×3, first 2 shown]
	v_add_co_u32_e32 v80, vcc, s2, v78
	v_addc_co_u32_e32 v81, vcc, v79, v84, vcc
	s_mov_b32 s0, 0xc201756d
	s_mov_b32 s1, 0x3f6756ca
	s_waitcnt vmcnt(11) lgkmcnt(5)
	v_mul_f64 v[82:83], v[22:23], v[2:3]
	v_mul_f64 v[2:3], v[20:21], v[2:3]
	s_waitcnt vmcnt(10) lgkmcnt(4)
	v_mul_f64 v[84:85], v[26:27], v[6:7]
	v_mul_f64 v[6:7], v[24:25], v[6:7]
	;; [unrolled: 3-line block ×4, first 2 shown]
	v_fma_f64 v[20:21], v[20:21], v[0:1], v[82:83]
	v_fma_f64 v[2:3], v[0:1], v[22:23], -v[2:3]
	v_fma_f64 v[22:23], v[24:25], v[4:5], v[84:85]
	v_fma_f64 v[6:7], v[4:5], v[26:27], -v[6:7]
	;; [unrolled: 2-line block ×4, first 2 shown]
	s_waitcnt vmcnt(7) lgkmcnt(1)
	v_mul_f64 v[90:91], v[42:43], v[18:19]
	v_mul_f64 v[18:19], v[40:41], v[18:19]
	;; [unrolled: 1-line block ×10, first 2 shown]
	v_fma_f64 v[20:21], v[40:41], v[16:17], v[90:91]
	v_fma_f64 v[16:17], v[16:17], v[42:43], -v[18:19]
	s_waitcnt vmcnt(6) lgkmcnt(0)
	v_mul_f64 v[18:19], v[46:47], v[38:39]
	v_mul_f64 v[22:23], v[44:45], v[38:39]
	global_store_dwordx4 v[72:73], v[0:3], off
	global_store_dwordx4 v[74:75], v[4:7], off
	;; [unrolled: 1-line block ×4, first 2 shown]
	ds_read_b128 v[4:7], v169 offset:2592
	ds_read_b128 v[8:11], v169 offset:3024
	v_mul_f64 v[0:1], v[20:21], s[0:1]
	v_mul_f64 v[2:3], v[16:17], s[0:1]
	v_fma_f64 v[12:13], v[44:45], v[36:37], v[18:19]
	v_fma_f64 v[14:15], v[36:37], v[46:47], -v[22:23]
	s_waitcnt vmcnt(9) lgkmcnt(1)
	v_mul_f64 v[16:17], v[6:7], v[50:51]
	v_mul_f64 v[18:19], v[4:5], v[50:51]
	v_mov_b32_e32 v21, s3
	v_add_co_u32_e32 v20, vcc, s2, v80
	v_addc_co_u32_e32 v21, vcc, v81, v21, vcc
	global_store_dwordx4 v[20:21], v[0:3], off
	v_fma_f64 v[4:5], v[4:5], v[48:49], v[16:17]
	v_mul_f64 v[0:1], v[12:13], s[0:1]
	v_mul_f64 v[2:3], v[14:15], s[0:1]
	v_fma_f64 v[6:7], v[48:49], v[6:7], -v[18:19]
	s_waitcnt vmcnt(9) lgkmcnt(0)
	v_mul_f64 v[12:13], v[10:11], v[54:55]
	v_mul_f64 v[14:15], v[8:9], v[54:55]
	v_mov_b32_e32 v22, s3
	v_add_co_u32_e32 v16, vcc, s2, v20
	v_addc_co_u32_e32 v17, vcc, v21, v22, vcc
	global_store_dwordx4 v[16:17], v[0:3], off
	v_fma_f64 v[12:13], v[8:9], v[52:53], v[12:13]
	v_mul_f64 v[0:1], v[4:5], s[0:1]
	v_mul_f64 v[2:3], v[6:7], s[0:1]
	ds_read_b128 v[4:7], v169 offset:3456
	v_fma_f64 v[14:15], v[52:53], v[10:11], -v[14:15]
	ds_read_b128 v[8:11], v169 offset:3888
	v_add_co_u32_e32 v16, vcc, s2, v16
	s_waitcnt vmcnt(9) lgkmcnt(1)
	v_mul_f64 v[18:19], v[6:7], v[58:59]
	v_mul_f64 v[20:21], v[4:5], v[58:59]
	v_addc_co_u32_e32 v17, vcc, v17, v22, vcc
	global_store_dwordx4 v[16:17], v[0:3], off
	v_add_co_u32_e32 v16, vcc, s2, v16
	v_mul_f64 v[0:1], v[12:13], s[0:1]
	v_mul_f64 v[2:3], v[14:15], s[0:1]
	v_fma_f64 v[4:5], v[4:5], v[56:57], v[18:19]
	v_fma_f64 v[6:7], v[56:57], v[6:7], -v[20:21]
	s_waitcnt vmcnt(9) lgkmcnt(0)
	v_mul_f64 v[12:13], v[10:11], v[62:63]
	v_mul_f64 v[14:15], v[8:9], v[62:63]
	v_addc_co_u32_e32 v17, vcc, v17, v22, vcc
	v_mov_b32_e32 v18, s3
	global_store_dwordx4 v[16:17], v[0:3], off
	v_add_co_u32_e32 v16, vcc, s2, v16
	v_mul_f64 v[0:1], v[4:5], s[0:1]
	v_mul_f64 v[2:3], v[6:7], s[0:1]
	v_fma_f64 v[12:13], v[8:9], v[60:61], v[12:13]
	v_fma_f64 v[14:15], v[60:61], v[10:11], -v[14:15]
	ds_read_b128 v[4:7], v169 offset:4320
	ds_read_b128 v[8:11], v169 offset:4752
	v_addc_co_u32_e32 v17, vcc, v17, v18, vcc
	s_waitcnt vmcnt(9) lgkmcnt(1)
	v_mul_f64 v[18:19], v[6:7], v[66:67]
	v_mul_f64 v[20:21], v[4:5], v[66:67]
	s_waitcnt vmcnt(8) lgkmcnt(0)
	v_mul_f64 v[22:23], v[10:11], v[70:71]
	v_mul_f64 v[24:25], v[8:9], v[70:71]
	global_store_dwordx4 v[16:17], v[0:3], off
	v_fma_f64 v[4:5], v[4:5], v[64:65], v[18:19]
	v_mul_f64 v[0:1], v[12:13], s[0:1]
	v_mul_f64 v[2:3], v[14:15], s[0:1]
	v_fma_f64 v[6:7], v[64:65], v[6:7], -v[20:21]
	v_fma_f64 v[8:9], v[8:9], v[68:69], v[22:23]
	v_fma_f64 v[10:11], v[68:69], v[10:11], -v[24:25]
	v_mov_b32_e32 v13, s3
	v_add_co_u32_e32 v12, vcc, s2, v16
	v_addc_co_u32_e32 v13, vcc, v17, v13, vcc
	global_store_dwordx4 v[12:13], v[0:3], off
	v_mov_b32_e32 v14, s3
	v_mul_f64 v[0:1], v[4:5], s[0:1]
	v_mul_f64 v[2:3], v[6:7], s[0:1]
	;; [unrolled: 1-line block ×4, first 2 shown]
	v_add_co_u32_e32 v8, vcc, s2, v12
	v_addc_co_u32_e32 v9, vcc, v13, v14, vcc
	global_store_dwordx4 v[8:9], v[0:3], off
	s_nop 0
	v_mov_b32_e32 v0, s3
	v_add_co_u32_e32 v8, vcc, s2, v8
	v_addc_co_u32_e32 v9, vcc, v9, v0, vcc
	global_store_dwordx4 v[8:9], v[4:7], off
	global_load_dwordx4 v[0:3], v[76:77], off offset:1088
	ds_read_b128 v[4:7], v169 offset:5184
	s_waitcnt vmcnt(0) lgkmcnt(0)
	v_mul_f64 v[10:11], v[6:7], v[2:3]
	v_mul_f64 v[2:3], v[4:5], v[2:3]
	v_fma_f64 v[4:5], v[4:5], v[0:1], v[10:11]
	v_fma_f64 v[2:3], v[0:1], v[6:7], -v[2:3]
	v_mul_f64 v[0:1], v[4:5], s[0:1]
	v_mul_f64 v[2:3], v[2:3], s[0:1]
	v_mov_b32_e32 v5, s3
	v_add_co_u32_e32 v4, vcc, s2, v8
	v_addc_co_u32_e32 v5, vcc, v9, v5, vcc
	global_store_dwordx4 v[4:5], v[0:3], off
.LBB0_15:
	s_endpgm
	.section	.rodata,"a",@progbits
	.p2align	6, 0x0
	.amdhsa_kernel bluestein_single_back_len351_dim1_dp_op_CI_CI
		.amdhsa_group_segment_fixed_size 16848
		.amdhsa_private_segment_fixed_size 0
		.amdhsa_kernarg_size 104
		.amdhsa_user_sgpr_count 6
		.amdhsa_user_sgpr_private_segment_buffer 1
		.amdhsa_user_sgpr_dispatch_ptr 0
		.amdhsa_user_sgpr_queue_ptr 0
		.amdhsa_user_sgpr_kernarg_segment_ptr 1
		.amdhsa_user_sgpr_dispatch_id 0
		.amdhsa_user_sgpr_flat_scratch_init 0
		.amdhsa_user_sgpr_private_segment_size 0
		.amdhsa_uses_dynamic_stack 0
		.amdhsa_system_sgpr_private_segment_wavefront_offset 0
		.amdhsa_system_sgpr_workgroup_id_x 1
		.amdhsa_system_sgpr_workgroup_id_y 0
		.amdhsa_system_sgpr_workgroup_id_z 0
		.amdhsa_system_sgpr_workgroup_info 0
		.amdhsa_system_vgpr_workitem_id 0
		.amdhsa_next_free_vgpr 252
		.amdhsa_next_free_sgpr 50
		.amdhsa_reserve_vcc 1
		.amdhsa_reserve_flat_scratch 0
		.amdhsa_float_round_mode_32 0
		.amdhsa_float_round_mode_16_64 0
		.amdhsa_float_denorm_mode_32 3
		.amdhsa_float_denorm_mode_16_64 3
		.amdhsa_dx10_clamp 1
		.amdhsa_ieee_mode 1
		.amdhsa_fp16_overflow 0
		.amdhsa_exception_fp_ieee_invalid_op 0
		.amdhsa_exception_fp_denorm_src 0
		.amdhsa_exception_fp_ieee_div_zero 0
		.amdhsa_exception_fp_ieee_overflow 0
		.amdhsa_exception_fp_ieee_underflow 0
		.amdhsa_exception_fp_ieee_inexact 0
		.amdhsa_exception_int_div_zero 0
	.end_amdhsa_kernel
	.text
.Lfunc_end0:
	.size	bluestein_single_back_len351_dim1_dp_op_CI_CI, .Lfunc_end0-bluestein_single_back_len351_dim1_dp_op_CI_CI
                                        ; -- End function
	.section	.AMDGPU.csdata,"",@progbits
; Kernel info:
; codeLenInByte = 15832
; NumSgprs: 54
; NumVgprs: 252
; ScratchSize: 0
; MemoryBound: 0
; FloatMode: 240
; IeeeMode: 1
; LDSByteSize: 16848 bytes/workgroup (compile time only)
; SGPRBlocks: 6
; VGPRBlocks: 62
; NumSGPRsForWavesPerEU: 54
; NumVGPRsForWavesPerEU: 252
; Occupancy: 1
; WaveLimiterHint : 1
; COMPUTE_PGM_RSRC2:SCRATCH_EN: 0
; COMPUTE_PGM_RSRC2:USER_SGPR: 6
; COMPUTE_PGM_RSRC2:TRAP_HANDLER: 0
; COMPUTE_PGM_RSRC2:TGID_X_EN: 1
; COMPUTE_PGM_RSRC2:TGID_Y_EN: 0
; COMPUTE_PGM_RSRC2:TGID_Z_EN: 0
; COMPUTE_PGM_RSRC2:TIDIG_COMP_CNT: 0
	.type	__hip_cuid_c6c3856e1bcd54fc,@object ; @__hip_cuid_c6c3856e1bcd54fc
	.section	.bss,"aw",@nobits
	.globl	__hip_cuid_c6c3856e1bcd54fc
__hip_cuid_c6c3856e1bcd54fc:
	.byte	0                               ; 0x0
	.size	__hip_cuid_c6c3856e1bcd54fc, 1

	.ident	"AMD clang version 19.0.0git (https://github.com/RadeonOpenCompute/llvm-project roc-6.4.0 25133 c7fe45cf4b819c5991fe208aaa96edf142730f1d)"
	.section	".note.GNU-stack","",@progbits
	.addrsig
	.addrsig_sym __hip_cuid_c6c3856e1bcd54fc
	.amdgpu_metadata
---
amdhsa.kernels:
  - .args:
      - .actual_access:  read_only
        .address_space:  global
        .offset:         0
        .size:           8
        .value_kind:     global_buffer
      - .actual_access:  read_only
        .address_space:  global
        .offset:         8
        .size:           8
        .value_kind:     global_buffer
      - .actual_access:  read_only
        .address_space:  global
        .offset:         16
        .size:           8
        .value_kind:     global_buffer
      - .actual_access:  read_only
        .address_space:  global
        .offset:         24
        .size:           8
        .value_kind:     global_buffer
      - .actual_access:  read_only
        .address_space:  global
        .offset:         32
        .size:           8
        .value_kind:     global_buffer
      - .offset:         40
        .size:           8
        .value_kind:     by_value
      - .address_space:  global
        .offset:         48
        .size:           8
        .value_kind:     global_buffer
      - .address_space:  global
        .offset:         56
        .size:           8
        .value_kind:     global_buffer
      - .address_space:  global
        .offset:         64
        .size:           8
        .value_kind:     global_buffer
      - .address_space:  global
        .offset:         72
        .size:           8
        .value_kind:     global_buffer
      - .offset:         80
        .size:           4
        .value_kind:     by_value
      - .address_space:  global
        .offset:         88
        .size:           8
        .value_kind:     global_buffer
      - .address_space:  global
        .offset:         96
        .size:           8
        .value_kind:     global_buffer
    .group_segment_fixed_size: 16848
    .kernarg_segment_align: 8
    .kernarg_segment_size: 104
    .language:       OpenCL C
    .language_version:
      - 2
      - 0
    .max_flat_workgroup_size: 117
    .name:           bluestein_single_back_len351_dim1_dp_op_CI_CI
    .private_segment_fixed_size: 0
    .sgpr_count:     54
    .sgpr_spill_count: 0
    .symbol:         bluestein_single_back_len351_dim1_dp_op_CI_CI.kd
    .uniform_work_group_size: 1
    .uses_dynamic_stack: false
    .vgpr_count:     252
    .vgpr_spill_count: 0
    .wavefront_size: 64
amdhsa.target:   amdgcn-amd-amdhsa--gfx906
amdhsa.version:
  - 1
  - 2
...

	.end_amdgpu_metadata
